;; amdgpu-corpus repo=ROCm/rocFFT kind=compiled arch=gfx1201 opt=O3
	.text
	.amdgcn_target "amdgcn-amd-amdhsa--gfx1201"
	.amdhsa_code_object_version 6
	.protected	fft_rtc_fwd_len507_factors_13_3_13_wgs_117_tpt_39_halfLds_dp_op_CI_CI_unitstride_sbrr_dirReg ; -- Begin function fft_rtc_fwd_len507_factors_13_3_13_wgs_117_tpt_39_halfLds_dp_op_CI_CI_unitstride_sbrr_dirReg
	.globl	fft_rtc_fwd_len507_factors_13_3_13_wgs_117_tpt_39_halfLds_dp_op_CI_CI_unitstride_sbrr_dirReg
	.p2align	8
	.type	fft_rtc_fwd_len507_factors_13_3_13_wgs_117_tpt_39_halfLds_dp_op_CI_CI_unitstride_sbrr_dirReg,@function
fft_rtc_fwd_len507_factors_13_3_13_wgs_117_tpt_39_halfLds_dp_op_CI_CI_unitstride_sbrr_dirReg: ; @fft_rtc_fwd_len507_factors_13_3_13_wgs_117_tpt_39_halfLds_dp_op_CI_CI_unitstride_sbrr_dirReg
; %bb.0:
	s_load_b128 s[8:11], s[0:1], 0x0
	v_mul_u32_u24_e32 v1, 0x691, v0
	s_clause 0x1
	s_load_b128 s[4:7], s[0:1], 0x58
	s_load_b128 s[12:15], s[0:1], 0x18
	v_mov_b32_e32 v4, 0
	v_lshrrev_b32_e32 v2, 16, v1
	v_mov_b32_e32 v1, 0
	s_delay_alu instid0(VALU_DEP_2) | instskip(NEXT) | instid1(VALU_DEP_2)
	v_mad_co_u64_u32 v[54:55], null, ttmp9, 3, v[2:3]
	v_mov_b32_e32 v55, v1
	v_mov_b32_e32 v5, 0
	s_delay_alu instid0(VALU_DEP_2) | instskip(SKIP_2) | instid1(VALU_DEP_3)
	v_dual_mov_b32 v79, v55 :: v_dual_mov_b32 v78, v54
	s_wait_kmcnt 0x0
	v_cmp_lt_u64_e64 s2, s[10:11], 2
	v_dual_mov_b32 v77, v5 :: v_dual_mov_b32 v76, v4
	s_delay_alu instid0(VALU_DEP_2)
	s_and_b32 vcc_lo, exec_lo, s2
	s_cbranch_vccnz .LBB0_8
; %bb.1:
	s_load_b64 s[2:3], s[0:1], 0x10
	v_mov_b32_e32 v4, 0
	v_dual_mov_b32 v5, 0 :: v_dual_mov_b32 v6, v54
	v_mov_b32_e32 v7, v55
	s_add_nc_u64 s[16:17], s[14:15], 8
	s_add_nc_u64 s[18:19], s[12:13], 8
	s_delay_alu instid0(VALU_DEP_2)
	v_dual_mov_b32 v77, v5 :: v_dual_mov_b32 v76, v4
	s_mov_b64 s[20:21], 1
	s_wait_kmcnt 0x0
	s_add_nc_u64 s[22:23], s[2:3], 8
	s_mov_b32 s3, 0
.LBB0_2:                                ; =>This Inner Loop Header: Depth=1
	s_load_b64 s[24:25], s[22:23], 0x0
                                        ; implicit-def: $vgpr78_vgpr79
	s_mov_b32 s2, exec_lo
	s_wait_kmcnt 0x0
	v_or_b32_e32 v2, s25, v7
	s_delay_alu instid0(VALU_DEP_1)
	v_cmpx_ne_u64_e32 0, v[1:2]
	s_wait_alu 0xfffe
	s_xor_b32 s26, exec_lo, s2
	s_cbranch_execz .LBB0_4
; %bb.3:                                ;   in Loop: Header=BB0_2 Depth=1
	s_cvt_f32_u32 s2, s24
	s_cvt_f32_u32 s27, s25
	s_sub_nc_u64 s[30:31], 0, s[24:25]
	s_wait_alu 0xfffe
	s_delay_alu instid0(SALU_CYCLE_1) | instskip(SKIP_1) | instid1(SALU_CYCLE_2)
	s_fmamk_f32 s2, s27, 0x4f800000, s2
	s_wait_alu 0xfffe
	v_s_rcp_f32 s2, s2
	s_delay_alu instid0(TRANS32_DEP_1) | instskip(SKIP_1) | instid1(SALU_CYCLE_2)
	s_mul_f32 s2, s2, 0x5f7ffffc
	s_wait_alu 0xfffe
	s_mul_f32 s27, s2, 0x2f800000
	s_wait_alu 0xfffe
	s_delay_alu instid0(SALU_CYCLE_2) | instskip(SKIP_1) | instid1(SALU_CYCLE_2)
	s_trunc_f32 s27, s27
	s_wait_alu 0xfffe
	s_fmamk_f32 s2, s27, 0xcf800000, s2
	s_cvt_u32_f32 s29, s27
	s_wait_alu 0xfffe
	s_delay_alu instid0(SALU_CYCLE_1) | instskip(SKIP_1) | instid1(SALU_CYCLE_2)
	s_cvt_u32_f32 s28, s2
	s_wait_alu 0xfffe
	s_mul_u64 s[34:35], s[30:31], s[28:29]
	s_wait_alu 0xfffe
	s_mul_hi_u32 s37, s28, s35
	s_mul_i32 s36, s28, s35
	s_mul_hi_u32 s2, s28, s34
	s_mul_i32 s33, s29, s34
	s_wait_alu 0xfffe
	s_add_nc_u64 s[36:37], s[2:3], s[36:37]
	s_mul_hi_u32 s27, s29, s34
	s_mul_hi_u32 s38, s29, s35
	s_add_co_u32 s2, s36, s33
	s_wait_alu 0xfffe
	s_add_co_ci_u32 s2, s37, s27
	s_mul_i32 s34, s29, s35
	s_add_co_ci_u32 s35, s38, 0
	s_wait_alu 0xfffe
	s_add_nc_u64 s[34:35], s[2:3], s[34:35]
	s_wait_alu 0xfffe
	v_add_co_u32 v2, s2, s28, s34
	s_delay_alu instid0(VALU_DEP_1) | instskip(SKIP_1) | instid1(VALU_DEP_1)
	s_cmp_lg_u32 s2, 0
	s_add_co_ci_u32 s29, s29, s35
	v_readfirstlane_b32 s28, v2
	s_wait_alu 0xfffe
	s_delay_alu instid0(VALU_DEP_1)
	s_mul_u64 s[30:31], s[30:31], s[28:29]
	s_wait_alu 0xfffe
	s_mul_hi_u32 s35, s28, s31
	s_mul_i32 s34, s28, s31
	s_mul_hi_u32 s2, s28, s30
	s_mul_i32 s33, s29, s30
	s_wait_alu 0xfffe
	s_add_nc_u64 s[34:35], s[2:3], s[34:35]
	s_mul_hi_u32 s27, s29, s30
	s_mul_hi_u32 s28, s29, s31
	s_wait_alu 0xfffe
	s_add_co_u32 s2, s34, s33
	s_add_co_ci_u32 s2, s35, s27
	s_mul_i32 s30, s29, s31
	s_add_co_ci_u32 s31, s28, 0
	s_wait_alu 0xfffe
	s_add_nc_u64 s[30:31], s[2:3], s[30:31]
	s_wait_alu 0xfffe
	v_add_co_u32 v8, s2, v2, s30
	s_delay_alu instid0(VALU_DEP_1) | instskip(SKIP_1) | instid1(VALU_DEP_1)
	s_cmp_lg_u32 s2, 0
	s_add_co_ci_u32 s2, s29, s31
	v_mul_hi_u32 v12, v6, v8
	s_wait_alu 0xfffe
	v_mad_co_u64_u32 v[2:3], null, v6, s2, 0
	v_mad_co_u64_u32 v[8:9], null, v7, v8, 0
	;; [unrolled: 1-line block ×3, first 2 shown]
	s_delay_alu instid0(VALU_DEP_3) | instskip(SKIP_1) | instid1(VALU_DEP_4)
	v_add_co_u32 v2, vcc_lo, v12, v2
	s_wait_alu 0xfffd
	v_add_co_ci_u32_e32 v3, vcc_lo, 0, v3, vcc_lo
	s_delay_alu instid0(VALU_DEP_2) | instskip(SKIP_1) | instid1(VALU_DEP_2)
	v_add_co_u32 v2, vcc_lo, v2, v8
	s_wait_alu 0xfffd
	v_add_co_ci_u32_e32 v2, vcc_lo, v3, v9, vcc_lo
	s_wait_alu 0xfffd
	v_add_co_ci_u32_e32 v3, vcc_lo, 0, v11, vcc_lo
	s_delay_alu instid0(VALU_DEP_2) | instskip(SKIP_1) | instid1(VALU_DEP_2)
	v_add_co_u32 v8, vcc_lo, v2, v10
	s_wait_alu 0xfffd
	v_add_co_ci_u32_e32 v9, vcc_lo, 0, v3, vcc_lo
	s_delay_alu instid0(VALU_DEP_2) | instskip(SKIP_1) | instid1(VALU_DEP_3)
	v_mul_lo_u32 v10, s25, v8
	v_mad_co_u64_u32 v[2:3], null, s24, v8, 0
	v_mul_lo_u32 v11, s24, v9
	s_delay_alu instid0(VALU_DEP_2) | instskip(NEXT) | instid1(VALU_DEP_2)
	v_sub_co_u32 v2, vcc_lo, v6, v2
	v_add3_u32 v3, v3, v11, v10
	s_delay_alu instid0(VALU_DEP_1) | instskip(SKIP_1) | instid1(VALU_DEP_1)
	v_sub_nc_u32_e32 v10, v7, v3
	s_wait_alu 0xfffd
	v_subrev_co_ci_u32_e64 v10, s2, s25, v10, vcc_lo
	v_add_co_u32 v11, s2, v8, 2
	s_wait_alu 0xf1ff
	v_add_co_ci_u32_e64 v12, s2, 0, v9, s2
	v_sub_co_u32 v13, s2, v2, s24
	v_sub_co_ci_u32_e32 v3, vcc_lo, v7, v3, vcc_lo
	s_wait_alu 0xf1ff
	v_subrev_co_ci_u32_e64 v10, s2, 0, v10, s2
	s_delay_alu instid0(VALU_DEP_3) | instskip(NEXT) | instid1(VALU_DEP_3)
	v_cmp_le_u32_e32 vcc_lo, s24, v13
	v_cmp_eq_u32_e64 s2, s25, v3
	s_wait_alu 0xfffd
	v_cndmask_b32_e64 v13, 0, -1, vcc_lo
	v_cmp_le_u32_e32 vcc_lo, s25, v10
	s_wait_alu 0xfffd
	v_cndmask_b32_e64 v14, 0, -1, vcc_lo
	v_cmp_le_u32_e32 vcc_lo, s24, v2
	;; [unrolled: 3-line block ×3, first 2 shown]
	s_wait_alu 0xfffd
	v_cndmask_b32_e64 v15, 0, -1, vcc_lo
	v_cmp_eq_u32_e32 vcc_lo, s25, v10
	s_wait_alu 0xf1ff
	s_delay_alu instid0(VALU_DEP_2)
	v_cndmask_b32_e64 v2, v15, v2, s2
	s_wait_alu 0xfffd
	v_cndmask_b32_e32 v10, v14, v13, vcc_lo
	v_add_co_u32 v13, vcc_lo, v8, 1
	s_wait_alu 0xfffd
	v_add_co_ci_u32_e32 v14, vcc_lo, 0, v9, vcc_lo
	s_delay_alu instid0(VALU_DEP_3) | instskip(SKIP_1) | instid1(VALU_DEP_2)
	v_cmp_ne_u32_e32 vcc_lo, 0, v10
	s_wait_alu 0xfffd
	v_dual_cndmask_b32 v3, v14, v12 :: v_dual_cndmask_b32 v10, v13, v11
	v_cmp_ne_u32_e32 vcc_lo, 0, v2
	s_wait_alu 0xfffd
	s_delay_alu instid0(VALU_DEP_2)
	v_dual_cndmask_b32 v79, v9, v3 :: v_dual_cndmask_b32 v78, v8, v10
.LBB0_4:                                ;   in Loop: Header=BB0_2 Depth=1
	s_wait_alu 0xfffe
	s_and_not1_saveexec_b32 s2, s26
	s_cbranch_execz .LBB0_6
; %bb.5:                                ;   in Loop: Header=BB0_2 Depth=1
	v_cvt_f32_u32_e32 v2, s24
	s_sub_co_i32 s26, 0, s24
	v_mov_b32_e32 v79, v1
	s_delay_alu instid0(VALU_DEP_2) | instskip(NEXT) | instid1(TRANS32_DEP_1)
	v_rcp_iflag_f32_e32 v2, v2
	v_mul_f32_e32 v2, 0x4f7ffffe, v2
	s_delay_alu instid0(VALU_DEP_1) | instskip(SKIP_1) | instid1(VALU_DEP_1)
	v_cvt_u32_f32_e32 v2, v2
	s_wait_alu 0xfffe
	v_mul_lo_u32 v3, s26, v2
	s_delay_alu instid0(VALU_DEP_1) | instskip(NEXT) | instid1(VALU_DEP_1)
	v_mul_hi_u32 v3, v2, v3
	v_add_nc_u32_e32 v2, v2, v3
	s_delay_alu instid0(VALU_DEP_1) | instskip(NEXT) | instid1(VALU_DEP_1)
	v_mul_hi_u32 v2, v6, v2
	v_mul_lo_u32 v3, v2, s24
	v_add_nc_u32_e32 v8, 1, v2
	s_delay_alu instid0(VALU_DEP_2) | instskip(NEXT) | instid1(VALU_DEP_1)
	v_sub_nc_u32_e32 v3, v6, v3
	v_subrev_nc_u32_e32 v9, s24, v3
	v_cmp_le_u32_e32 vcc_lo, s24, v3
	s_wait_alu 0xfffd
	s_delay_alu instid0(VALU_DEP_2) | instskip(NEXT) | instid1(VALU_DEP_1)
	v_dual_cndmask_b32 v3, v3, v9 :: v_dual_cndmask_b32 v2, v2, v8
	v_cmp_le_u32_e32 vcc_lo, s24, v3
	s_delay_alu instid0(VALU_DEP_2) | instskip(SKIP_1) | instid1(VALU_DEP_1)
	v_add_nc_u32_e32 v8, 1, v2
	s_wait_alu 0xfffd
	v_cndmask_b32_e32 v78, v2, v8, vcc_lo
.LBB0_6:                                ;   in Loop: Header=BB0_2 Depth=1
	s_wait_alu 0xfffe
	s_or_b32 exec_lo, exec_lo, s2
	v_mul_lo_u32 v8, v79, s24
	s_delay_alu instid0(VALU_DEP_2)
	v_mul_lo_u32 v9, v78, s25
	s_load_b64 s[26:27], s[18:19], 0x0
	v_mad_co_u64_u32 v[2:3], null, v78, s24, 0
	s_load_b64 s[24:25], s[16:17], 0x0
	s_add_nc_u64 s[20:21], s[20:21], 1
	s_add_nc_u64 s[16:17], s[16:17], 8
	s_wait_alu 0xfffe
	v_cmp_ge_u64_e64 s2, s[20:21], s[10:11]
	s_add_nc_u64 s[18:19], s[18:19], 8
	s_add_nc_u64 s[22:23], s[22:23], 8
	v_add3_u32 v3, v3, v9, v8
	v_sub_co_u32 v2, vcc_lo, v6, v2
	s_wait_alu 0xfffd
	s_delay_alu instid0(VALU_DEP_2) | instskip(SKIP_2) | instid1(VALU_DEP_1)
	v_sub_co_ci_u32_e32 v3, vcc_lo, v7, v3, vcc_lo
	s_and_b32 vcc_lo, exec_lo, s2
	s_wait_kmcnt 0x0
	v_mul_lo_u32 v6, s26, v3
	v_mul_lo_u32 v7, s27, v2
	v_mad_co_u64_u32 v[4:5], null, s26, v2, v[4:5]
	v_mul_lo_u32 v3, s24, v3
	v_mul_lo_u32 v8, s25, v2
	v_mad_co_u64_u32 v[76:77], null, s24, v2, v[76:77]
	s_delay_alu instid0(VALU_DEP_4) | instskip(NEXT) | instid1(VALU_DEP_2)
	v_add3_u32 v5, v7, v5, v6
	v_add3_u32 v77, v8, v77, v3
	s_wait_alu 0xfffe
	s_cbranch_vccnz .LBB0_8
; %bb.7:                                ;   in Loop: Header=BB0_2 Depth=1
	v_dual_mov_b32 v6, v78 :: v_dual_mov_b32 v7, v79
	s_branch .LBB0_2
.LBB0_8:
	s_load_b64 s[0:1], s[0:1], 0x28
	v_mul_hi_u32 v1, 0x6906907, v0
	s_lshl_b64 s[10:11], s[10:11], 3
                                        ; implicit-def: $sgpr2_sgpr3
                                        ; implicit-def: $vgpr82
	s_wait_kmcnt 0x0
	v_cmp_gt_u64_e32 vcc_lo, s[0:1], v[78:79]
	v_cmp_le_u64_e64 s0, s[0:1], v[78:79]
	s_delay_alu instid0(VALU_DEP_1)
	s_and_saveexec_b32 s1, s0
	s_wait_alu 0xfffe
	s_xor_b32 s0, exec_lo, s1
; %bb.9:
	v_mul_u32_u24_e32 v1, 39, v1
	s_mov_b64 s[2:3], 0
                                        ; implicit-def: $vgpr4_vgpr5
	s_delay_alu instid0(VALU_DEP_1)
	v_sub_nc_u32_e32 v82, v0, v1
                                        ; implicit-def: $vgpr1
                                        ; implicit-def: $vgpr0
; %bb.10:
	s_wait_alu 0xfffe
	s_or_saveexec_b32 s1, s0
	v_dual_mov_b32 v81, s3 :: v_dual_mov_b32 v80, s2
	s_add_nc_u64 s[2:3], s[14:15], s[10:11]
                                        ; implicit-def: $vgpr2_vgpr3
                                        ; implicit-def: $vgpr6_vgpr7
                                        ; implicit-def: $vgpr10_vgpr11
                                        ; implicit-def: $vgpr22_vgpr23
                                        ; implicit-def: $vgpr34_vgpr35
                                        ; implicit-def: $vgpr18_vgpr19
                                        ; implicit-def: $vgpr14_vgpr15
                                        ; implicit-def: $vgpr26_vgpr27
                                        ; implicit-def: $vgpr38_vgpr39
                                        ; implicit-def: $vgpr42_vgpr43
                                        ; implicit-def: $vgpr46_vgpr47
                                        ; implicit-def: $vgpr50_vgpr51
                                        ; implicit-def: $vgpr30_vgpr31
	s_wait_alu 0xfffe
	s_xor_b32 exec_lo, exec_lo, s1
	s_cbranch_execz .LBB0_12
; %bb.11:
	s_add_nc_u64 s[10:11], s[12:13], s[10:11]
	v_mov_b32_e32 v83, 0
	s_load_b64 s[10:11], s[10:11], 0x0
	s_wait_kmcnt 0x0
	v_mul_lo_u32 v6, s11, v78
	v_mul_lo_u32 v7, s10, v79
	v_mad_co_u64_u32 v[2:3], null, s10, v78, 0
	s_delay_alu instid0(VALU_DEP_1) | instskip(SKIP_1) | instid1(VALU_DEP_2)
	v_add3_u32 v3, v3, v7, v6
	v_mul_u32_u24_e32 v6, 39, v1
	v_lshlrev_b64_e32 v[1:2], 4, v[2:3]
	v_lshlrev_b64_e32 v[3:4], 4, v[4:5]
	s_delay_alu instid0(VALU_DEP_3) | instskip(NEXT) | instid1(VALU_DEP_3)
	v_sub_nc_u32_e32 v82, v0, v6
	v_add_co_u32 v0, s0, s4, v1
	s_wait_alu 0xf1ff
	s_delay_alu instid0(VALU_DEP_4) | instskip(NEXT) | instid1(VALU_DEP_3)
	v_add_co_ci_u32_e64 v1, s0, s5, v2, s0
	v_lshlrev_b32_e32 v2, 4, v82
	s_delay_alu instid0(VALU_DEP_3) | instskip(SKIP_1) | instid1(VALU_DEP_3)
	v_add_co_u32 v0, s0, v0, v3
	s_wait_alu 0xf1ff
	v_add_co_ci_u32_e64 v1, s0, v1, v4, s0
	v_dual_mov_b32 v80, v82 :: v_dual_mov_b32 v81, v83
	s_delay_alu instid0(VALU_DEP_3) | instskip(SKIP_1) | instid1(VALU_DEP_3)
	v_add_co_u32 v0, s0, v0, v2
	s_wait_alu 0xf1ff
	v_add_co_ci_u32_e64 v1, s0, 0, v1, s0
	s_clause 0xc
	global_load_b128 v[28:31], v[0:1], off
	global_load_b128 v[48:51], v[0:1], off offset:624
	global_load_b128 v[44:47], v[0:1], off offset:1248
	;; [unrolled: 1-line block ×12, first 2 shown]
.LBB0_12:
	s_or_b32 exec_lo, exec_lo, s1
	s_wait_loadcnt 0xb
	v_add_f64_e32 v[52:53], v[48:49], v[28:29]
	s_wait_loadcnt 0x0
	v_add_f64_e32 v[55:56], v[0:1], v[48:49]
	s_mov_b32 s14, 0xe00740e9
	s_mov_b32 s10, 0x1ea71119
	;; [unrolled: 1-line block ×10, first 2 shown]
	v_add_f64_e64 v[57:58], v[50:51], -v[2:3]
	v_add_f64_e32 v[59:60], v[4:5], v[44:45]
	s_mov_b32 s4, 0xebaa3ed8
	s_mov_b32 s5, 0x3fbedb7d
	;; [unrolled: 1-line block ×13, first 2 shown]
	s_wait_alu 0xfffe
	s_mov_b32 s34, s24
	s_mov_b32 s22, s42
	;; [unrolled: 1-line block ×8, first 2 shown]
	v_add_f64_e32 v[71:72], v[8:9], v[40:41]
	v_add_f64_e64 v[73:74], v[46:47], -v[6:7]
	s_mov_b32 s45, 0xbfddbe06
	v_add_f64_e32 v[52:53], v[44:45], v[52:53]
	v_mul_f64_e32 v[61:62], s[14:15], v[55:56]
	v_mul_f64_e32 v[63:64], s[10:11], v[55:56]
	;; [unrolled: 1-line block ×6, first 2 shown]
	s_mov_b32 s21, 0x3fefc445
	s_mov_b32 s39, 0xbfefc445
	;; [unrolled: 1-line block ×3, first 2 shown]
	s_wait_alu 0xfffe
	s_mov_b32 s38, s20
	v_add_f64_e32 v[105:106], v[20:21], v[36:37]
	s_load_b64 s[2:3], s[2:3], 0x0
	v_mul_f64_e32 v[83:84], s[10:11], v[59:60]
	v_mul_f64_e32 v[85:86], s[12:13], v[59:60]
	v_mul_f64_e32 v[87:88], s[18:19], v[59:60]
	v_mul_f64_e32 v[89:90], s[16:17], v[59:60]
	v_mul_f64_e32 v[91:92], s[4:5], v[59:60]
	v_mul_f64_e32 v[59:60], s[14:15], v[59:60]
	v_cmp_gt_u32_e64 s0, 13, v82
	v_mul_f64_e32 v[107:108], s[4:5], v[71:72]
	v_mul_f64_e32 v[109:110], s[18:19], v[71:72]
	;; [unrolled: 1-line block ×3, first 2 shown]
	v_add_f64_e32 v[52:53], v[40:41], v[52:53]
	v_fma_f64 v[93:94], v[57:58], s[26:27], v[61:62]
	v_fma_f64 v[95:96], v[57:58], s[34:35], v[63:64]
	;; [unrolled: 1-line block ×12, first 2 shown]
	v_add_f64_e64 v[57:58], v[42:43], -v[10:11]
	v_mul_f64_e32 v[113:114], s[14:15], v[71:72]
	v_mul_f64_e32 v[115:116], s[10:11], v[71:72]
	;; [unrolled: 1-line block ×3, first 2 shown]
	v_fma_f64 v[117:118], v[73:74], s[24:25], v[83:84]
	v_fma_f64 v[83:84], v[73:74], s[34:35], v[83:84]
	v_fma_f64 v[119:120], v[73:74], s[42:43], v[85:86]
	v_fma_f64 v[85:86], v[73:74], s[22:23], v[85:86]
	v_fma_f64 v[121:122], v[73:74], s[36:37], v[87:88]
	v_fma_f64 v[87:88], v[73:74], s[30:31], v[87:88]
	v_fma_f64 v[123:124], v[73:74], s[28:29], v[89:90]
	v_fma_f64 v[89:90], v[73:74], s[40:41], v[89:90]
	v_fma_f64 v[125:126], v[73:74], s[38:39], v[91:92]
	v_fma_f64 v[91:92], v[73:74], s[20:21], v[91:92]
	v_fma_f64 v[127:128], v[73:74], s[44:45], v[59:60]
	v_fma_f64 v[59:60], v[73:74], s[26:27], v[59:60]
	v_mul_f64_e32 v[129:130], s[12:13], v[105:106]
	v_mul_f64_e32 v[131:132], s[16:17], v[105:106]
	v_mul_f64_e32 v[133:134], s[14:15], v[105:106]
	v_mul_f64_e32 v[135:136], s[4:5], v[105:106]
	v_mul_f64_e32 v[137:138], s[18:19], v[105:106]
	v_mul_f64_e32 v[105:106], s[10:11], v[105:106]
	v_add_f64_e32 v[52:53], v[36:37], v[52:53]
	v_add_f64_e32 v[73:74], v[28:29], v[93:94]
	;; [unrolled: 1-line block ×13, first 2 shown]
	v_add_f64_e64 v[55:56], v[38:39], -v[22:23]
	v_add_f64_e32 v[103:104], v[32:33], v[24:25]
	v_fma_f64 v[139:140], v[57:58], s[20:21], v[107:108]
	v_fma_f64 v[107:108], v[57:58], s[38:39], v[107:108]
	;; [unrolled: 1-line block ×12, first 2 shown]
	v_add_f64_e32 v[52:53], v[24:25], v[52:53]
	v_add_f64_e32 v[71:72], v[117:118], v[73:74]
	;; [unrolled: 1-line block ×13, first 2 shown]
	v_add_f64_e64 v[83:84], v[26:27], -v[34:35]
	v_add_f64_e32 v[87:88], v[16:17], v[12:13]
	v_mul_f64_e32 v[93:94], s[16:17], v[103:104]
	v_mul_f64_e32 v[95:96], s[4:5], v[103:104]
	v_mul_f64_e32 v[99:100], s[18:19], v[103:104]
	v_mul_f64_e32 v[101:102], s[14:15], v[103:104]
	v_fma_f64 v[117:118], v[55:56], s[42:43], v[129:130]
	v_fma_f64 v[119:120], v[55:56], s[22:23], v[129:130]
	;; [unrolled: 1-line block ×7, first 2 shown]
	v_mul_f64_e32 v[97:98], s[10:11], v[103:104]
	v_mul_f64_e32 v[103:104], s[12:13], v[103:104]
	v_fma_f64 v[121:122], v[55:56], s[28:29], v[131:132]
	v_fma_f64 v[131:132], v[55:56], s[38:39], v[135:136]
	;; [unrolled: 1-line block ×5, first 2 shown]
	v_add_f64_e32 v[52:53], v[12:13], v[52:53]
	v_add_f64_e32 v[71:72], v[139:140], v[71:72]
	;; [unrolled: 1-line block ×13, first 2 shown]
	v_add_f64_e64 v[69:70], v[14:15], -v[18:19]
	v_mul_f64_e32 v[105:106], s[18:19], v[87:88]
	v_mul_f64_e32 v[107:108], s[14:15], v[87:88]
	;; [unrolled: 1-line block ×6, first 2 shown]
	v_fma_f64 v[115:116], v[83:84], s[40:41], v[93:94]
	v_fma_f64 v[139:140], v[83:84], s[38:39], v[95:96]
	;; [unrolled: 1-line block ×12, first 2 shown]
	v_add_f64_e32 v[52:53], v[16:17], v[52:53]
	v_add_f64_e32 v[71:72], v[117:118], v[71:72]
	;; [unrolled: 1-line block ×13, first 2 shown]
	v_fma_f64 v[63:64], v[69:70], s[36:37], v[105:106]
	v_fma_f64 v[103:104], v[69:70], s[30:31], v[105:106]
	;; [unrolled: 1-line block ×12, first 2 shown]
	v_add_f64_e32 v[52:53], v[32:33], v[52:53]
	v_add_f64_e32 v[71:72], v[115:116], v[71:72]
	;; [unrolled: 1-line block ×24, first 2 shown]
	s_delay_alu instid0(VALU_DEP_1) | instskip(SKIP_1) | instid1(VALU_DEP_1)
	v_add_f64_e32 v[83:84], v[4:5], v[52:53]
	v_mul_hi_u32 v52, 0xaaaaaaab, v54
	v_lshrrev_b32_e32 v75, 1, v52
	v_add_f64_e32 v[52:53], v[103:104], v[57:58]
	v_add_f64_e32 v[57:58], v[109:110], v[59:60]
	;; [unrolled: 1-line block ×3, first 2 shown]
	s_delay_alu instid0(VALU_DEP_4) | instskip(NEXT) | instid1(VALU_DEP_1)
	v_lshl_add_u32 v69, v75, 1, v75
	v_sub_nc_u32_e32 v54, v54, v69
	s_delay_alu instid0(VALU_DEP_1) | instskip(NEXT) | instid1(VALU_DEP_1)
	v_mul_u32_u24_e32 v89, 0x1fb, v54
	v_lshl_add_u32 v54, v89, 3, 0
	s_delay_alu instid0(VALU_DEP_1) | instskip(SKIP_2) | instid1(VALU_DEP_3)
	v_mad_u32_u24 v90, 0x68, v82, v54
	v_lshl_add_u32 v88, v82, 3, v54
	v_add_f64_e32 v[61:62], v[0:1], v[83:84]
	v_mad_i32_i24 v87, 0xffffffa0, v82, v90
	ds_store_2addr_b64 v90, v[73:74], v[85:86] offset0:4 offset1:5
	ds_store_2addr_b64 v90, v[92:93], v[55:56] offset0:6 offset1:7
	;; [unrolled: 1-line block ×4, first 2 shown]
	ds_store_b64 v90, v[52:53] offset:96
	ds_store_2addr_b64 v90, v[61:62], v[63:64] offset1:1
	ds_store_2addr_b64 v90, v[59:60], v[28:29] offset0:2 offset1:3
	v_add_nc_u32_e32 v91, 0x800, v87
	global_wb scope:SCOPE_SE
	s_wait_dscnt 0x0
	s_wait_kmcnt 0x0
	s_barrier_signal -1
	s_barrier_wait -1
	global_inv scope:SCOPE_SE
	ds_load_2addr_b64 v[56:59], v87 offset0:117 offset1:169
	ds_load_2addr_b64 v[64:67], v91 offset0:30 offset1:82
	;; [unrolled: 1-line block ×5, first 2 shown]
	ds_load_b64 v[83:84], v88
	ds_load_b64 v[85:86], v87 offset:3640
                                        ; implicit-def: $vgpr28_vgpr29
	s_and_saveexec_b32 s1, s0
	s_cbranch_execz .LBB0_14
; %bb.13:
	v_add_nc_u32_e32 v28, 0x400, v87
	ds_load_2addr_b64 v[52:55], v28 offset0:28 offset1:197
	ds_load_b64 v[28:29], v87 offset:3952
.LBB0_14:
	s_wait_alu 0xfffe
	s_or_b32 exec_lo, exec_lo, s1
	v_add_f64_e32 v[92:93], v[50:51], v[30:31]
	v_add_f64_e64 v[0:1], v[48:49], -v[0:1]
	v_add_f64_e64 v[4:5], v[44:45], -v[4:5]
	v_add_f64_e32 v[44:45], v[2:3], v[50:51]
	v_add_f64_e64 v[8:9], v[40:41], -v[8:9]
	v_add_f64_e32 v[40:41], v[6:7], v[46:47]
	v_add_f64_e64 v[20:21], v[36:37], -v[20:21]
	v_add_f64_e64 v[24:25], v[24:25], -v[32:33]
	;; [unrolled: 1-line block ×3, first 2 shown]
	global_wb scope:SCOPE_SE
	s_wait_dscnt 0x0
	s_barrier_signal -1
	s_barrier_wait -1
	global_inv scope:SCOPE_SE
	v_add_f64_e32 v[92:93], v[46:47], v[92:93]
	v_mul_f64_e32 v[50:51], s[44:45], v[0:1]
	v_mul_f64_e32 v[94:95], s[22:23], v[0:1]
	;; [unrolled: 1-line block ×18, first 2 shown]
	v_add_f64_e32 v[92:93], v[42:43], v[92:93]
	v_fma_f64 v[108:109], v[44:45], s[14:15], v[50:51]
	v_fma_f64 v[50:51], v[44:45], s[14:15], -v[50:51]
	v_fma_f64 v[112:113], v[44:45], s[12:13], v[94:95]
	v_fma_f64 v[114:115], v[44:45], s[16:17], v[96:97]
	v_fma_f64 v[94:95], v[44:45], s[12:13], -v[94:95]
	v_fma_f64 v[116:117], v[44:45], s[18:19], v[98:99]
	v_fma_f64 v[98:99], v[44:45], s[18:19], -v[98:99]
	v_fma_f64 v[96:97], v[44:45], s[16:17], -v[96:97]
	v_add_f64_e32 v[42:43], v[10:11], v[42:43]
	v_fma_f64 v[126:127], v[40:41], s[10:11], v[46:47]
	v_fma_f64 v[46:47], v[40:41], s[10:11], -v[46:47]
	v_fma_f64 v[128:129], v[40:41], s[12:13], v[100:101]
	v_fma_f64 v[100:101], v[40:41], s[12:13], -v[100:101]
	;; [unrolled: 2-line block ×6, first 2 shown]
	v_add_f64_e32 v[48:49], v[38:39], v[92:93]
	v_mul_f64_e32 v[92:93], s[34:35], v[0:1]
	v_mul_f64_e32 v[0:1], s[38:39], v[0:1]
	v_add_f64_e32 v[40:41], v[30:31], v[108:109]
	v_add_f64_e32 v[50:51], v[30:31], v[50:51]
	;; [unrolled: 1-line block ×5, first 2 shown]
	v_fma_f64 v[142:143], v[42:43], s[4:5], v[36:37]
	v_fma_f64 v[36:37], v[42:43], s[4:5], -v[36:37]
	v_fma_f64 v[146:147], v[42:43], s[12:13], v[120:121]
	v_fma_f64 v[120:121], v[42:43], s[12:13], -v[120:121]
	;; [unrolled: 2-line block ×4, first 2 shown]
	v_add_f64_e32 v[48:49], v[26:27], v[48:49]
	v_fma_f64 v[110:111], v[44:45], s[10:11], -v[92:93]
	v_fma_f64 v[118:119], v[44:45], s[4:5], -v[0:1]
	v_fma_f64 v[92:93], v[44:45], s[10:11], v[92:93]
	v_fma_f64 v[0:1], v[44:45], s[4:5], v[0:1]
	v_mul_f64_e32 v[44:45], s[30:31], v[8:9]
	v_mul_f64_e32 v[8:9], s[28:29], v[8:9]
	v_add_f64_e32 v[40:41], v[126:127], v[40:41]
	v_add_f64_e32 v[94:95], v[104:105], v[94:95]
	;; [unrolled: 1-line block ×5, first 2 shown]
	v_mul_f64_e32 v[106:107], s[36:37], v[24:25]
	v_add_f64_e32 v[48:49], v[14:15], v[48:49]
	v_add_f64_e32 v[108:109], v[30:31], v[110:111]
	;; [unrolled: 1-line block ×9, first 2 shown]
	v_mul_f64_e32 v[38:39], s[40:41], v[20:21]
	v_mul_f64_e32 v[118:119], s[26:27], v[20:21]
	;; [unrolled: 1-line block ×3, first 2 shown]
	v_fma_f64 v[144:145], v[42:43], s[18:19], v[44:45]
	v_fma_f64 v[44:45], v[42:43], s[18:19], -v[44:45]
	v_fma_f64 v[152:153], v[42:43], s[16:17], v[8:9]
	v_fma_f64 v[8:9], v[42:43], s[16:17], -v[8:9]
	v_add_f64_e32 v[42:43], v[46:47], v[50:51]
	v_add_f64_e32 v[14:15], v[18:19], v[14:15]
	;; [unrolled: 1-line block ×10, first 2 shown]
	v_mul_f64_e32 v[102:103], s[34:35], v[24:25]
	v_mul_f64_e32 v[108:109], s[26:27], v[24:25]
	v_fma_f64 v[110:111], v[30:31], s[12:13], v[32:33]
	v_fma_f64 v[32:33], v[30:31], s[12:13], -v[32:33]
	v_fma_f64 v[112:113], v[30:31], s[16:17], v[38:39]
	v_fma_f64 v[38:39], v[30:31], s[16:17], -v[38:39]
	;; [unrolled: 2-line block ×6, first 2 shown]
	v_add_f64_e32 v[30:31], v[142:143], v[40:41]
	v_add_f64_e32 v[36:37], v[36:37], v[42:43]
	;; [unrolled: 1-line block ×4, first 2 shown]
	v_mul_f64_e32 v[18:19], s[30:31], v[12:13]
	v_mul_f64_e32 v[96:97], s[28:29], v[12:13]
	v_fma_f64 v[124:125], v[26:27], s[18:19], v[106:107]
	v_fma_f64 v[106:107], v[26:27], s[18:19], -v[106:107]
	v_add_f64_e32 v[48:49], v[34:35], v[48:49]
	v_mul_f64_e32 v[34:35], s[20:21], v[24:25]
	v_mul_f64_e32 v[24:25], s[22:23], v[24:25]
	v_add_f64_e32 v[40:41], v[44:45], v[46:47]
	v_add_f64_e32 v[42:43], v[148:149], v[50:51]
	;; [unrolled: 1-line block ×8, first 2 shown]
	v_mul_f64_e32 v[98:99], s[24:25], v[12:13]
	v_mul_f64_e32 v[100:101], s[22:23], v[12:13]
	v_fma_f64 v[104:105], v[26:27], s[16:17], v[16:17]
	v_fma_f64 v[16:17], v[26:27], s[16:17], -v[16:17]
	v_fma_f64 v[122:123], v[26:27], s[10:11], v[102:103]
	v_fma_f64 v[102:103], v[26:27], s[10:11], -v[102:103]
	;; [unrolled: 2-line block ×3, first 2 shown]
	v_add_f64_e32 v[4:5], v[20:21], v[4:5]
	v_add_f64_e32 v[8:9], v[130:131], v[8:9]
	;; [unrolled: 1-line block ×3, first 2 shown]
	v_mul_f64_e32 v[48:49], s[26:27], v[12:13]
	v_mul_f64_e32 v[12:13], s[20:21], v[12:13]
	v_fma_f64 v[120:121], v[26:27], s[4:5], v[34:35]
	v_fma_f64 v[34:35], v[26:27], s[4:5], -v[34:35]
	v_fma_f64 v[136:137], v[26:27], s[12:13], v[24:25]
	v_fma_f64 v[24:25], v[26:27], s[12:13], -v[24:25]
	v_add_f64_e32 v[26:27], v[110:111], v[30:31]
	v_add_f64_e32 v[30:31], v[32:33], v[36:37]
	;; [unrolled: 1-line block ×10, first 2 shown]
	v_fma_f64 v[50:51], v[14:15], s[16:17], v[96:97]
	v_fma_f64 v[92:93], v[14:15], s[16:17], -v[96:97]
	v_fma_f64 v[94:95], v[14:15], s[10:11], v[98:99]
	v_fma_f64 v[96:97], v[14:15], s[10:11], -v[98:99]
	;; [unrolled: 2-line block ×3, first 2 shown]
	v_add_f64_e32 v[10:11], v[10:11], v[22:23]
	v_fma_f64 v[22:23], v[14:15], s[18:19], v[18:19]
	v_fma_f64 v[18:19], v[14:15], s[18:19], -v[18:19]
	v_fma_f64 v[46:47], v[14:15], s[14:15], v[48:49]
	v_fma_f64 v[48:49], v[14:15], s[14:15], -v[48:49]
	;; [unrolled: 2-line block ×3, first 2 shown]
	v_add_f64_e32 v[14:15], v[104:105], v[26:27]
	v_add_f64_e32 v[16:17], v[16:17], v[30:31]
	;; [unrolled: 1-line block ×26, first 2 shown]
	ds_store_2addr_b64 v90, v[16:17], v[22:23] offset0:4 offset1:5
	ds_store_2addr_b64 v90, v[26:27], v[4:5] offset0:6 offset1:7
	;; [unrolled: 1-line block ×4, first 2 shown]
	ds_store_b64 v90, v[8:9] offset:96
	ds_store_2addr_b64 v90, v[2:3], v[10:11] offset1:1
	ds_store_2addr_b64 v90, v[24:25], v[0:1] offset0:2 offset1:3
	global_wb scope:SCOPE_SE
	s_wait_dscnt 0x0
	s_barrier_signal -1
	s_barrier_wait -1
	global_inv scope:SCOPE_SE
	ds_load_2addr_b64 v[0:3], v87 offset0:117 offset1:169
	ds_load_2addr_b64 v[12:15], v91 offset0:30 offset1:82
	;; [unrolled: 1-line block ×5, first 2 shown]
	ds_load_b64 v[24:25], v88
	ds_load_b64 v[30:31], v87 offset:3640
                                        ; implicit-def: $vgpr26_vgpr27
	s_and_saveexec_b32 s1, s0
	s_cbranch_execz .LBB0_16
; %bb.15:
	v_add_nc_u32_e32 v8, 0x400, v87
	ds_load_2addr_b64 v[8:11], v8 offset0:28 offset1:197
	ds_load_b64 v[26:27], v87 offset:3952
.LBB0_16:
	s_wait_alu 0xfffe
	s_or_b32 exec_lo, exec_lo, s1
	v_add_nc_u16 v32, v82, 39
	v_and_b32_e32 v34, 0xff, v82
	v_add_nc_u16 v33, v82, 0x4e
	v_add_nc_u16 v35, v82, 0x75
	s_mov_b32 s4, 0xe8584caa
	v_and_b32_e32 v36, 0xff, v32
	v_mul_lo_u16 v34, 0x4f, v34
	v_and_b32_e32 v37, 0xff, v33
	v_and_b32_e32 v38, 0xff, v35
	s_mov_b32 s5, 0x3febb67a
	v_mul_lo_u16 v36, 0x4f, v36
	v_lshrrev_b16 v132, 10, v34
	v_mul_lo_u16 v37, 0x4f, v37
	v_mul_lo_u16 v34, 0x4f, v38
	s_mov_b32 s11, 0xbfebb67a
	v_lshrrev_b16 v133, 10, v36
	v_mul_lo_u16 v36, v132, 13
	v_lshrrev_b16 v134, 10, v37
	v_lshrrev_b16 v135, 10, v34
	s_wait_alu 0xfffe
	s_mov_b32 s10, s4
	v_mul_lo_u16 v34, v133, 13
	v_sub_nc_u16 v36, v82, v36
	v_mul_lo_u16 v37, v134, 13
	v_mul_lo_u16 v38, v135, 13
	s_delay_alu instid0(VALU_DEP_4) | instskip(NEXT) | instid1(VALU_DEP_4)
	v_sub_nc_u16 v32, v32, v34
	v_and_b32_e32 v136, 0xff, v36
	s_delay_alu instid0(VALU_DEP_4) | instskip(NEXT) | instid1(VALU_DEP_4)
	v_sub_nc_u16 v33, v33, v37
	v_sub_nc_u16 v34, v35, v38
	s_delay_alu instid0(VALU_DEP_4) | instskip(NEXT) | instid1(VALU_DEP_4)
	v_and_b32_e32 v137, 0xff, v32
	v_lshlrev_b32_e32 v32, 5, v136
	s_delay_alu instid0(VALU_DEP_4) | instskip(NEXT) | instid1(VALU_DEP_4)
	v_and_b32_e32 v138, 0xff, v33
	v_and_b32_e32 v139, 0xff, v34
	s_clause 0x1
	global_load_b128 v[90:93], v32, s[8:9] offset:16
	global_load_b128 v[48:51], v32, s[8:9]
	v_lshlrev_b32_e32 v33, 5, v137
	v_lshlrev_b32_e32 v34, 5, v138
	;; [unrolled: 1-line block ×3, first 2 shown]
	s_clause 0x5
	global_load_b128 v[94:97], v33, s[8:9]
	global_load_b128 v[98:101], v33, s[8:9] offset:16
	global_load_b128 v[102:105], v34, s[8:9]
	global_load_b128 v[106:109], v34, s[8:9] offset:16
	;; [unrolled: 2-line block ×3, first 2 shown]
	v_add_nc_u16 v32, v82, 0x9c
	s_delay_alu instid0(VALU_DEP_1) | instskip(NEXT) | instid1(VALU_DEP_1)
	v_and_b32_e32 v33, 0xff, v32
	v_mul_lo_u16 v33, 0x4f, v33
	s_delay_alu instid0(VALU_DEP_1) | instskip(NEXT) | instid1(VALU_DEP_1)
	v_lshrrev_b16 v33, 10, v33
	v_mul_lo_u16 v33, v33, 13
	s_delay_alu instid0(VALU_DEP_1) | instskip(NEXT) | instid1(VALU_DEP_1)
	v_sub_nc_u16 v32, v32, v33
	v_and_b32_e32 v140, 0xff, v32
	s_delay_alu instid0(VALU_DEP_1)
	v_lshlrev_b32_e32 v32, 5, v140
	s_clause 0x1
	global_load_b128 v[118:121], v32, s[8:9]
	global_load_b128 v[122:125], v32, s[8:9] offset:16
	global_wb scope:SCOPE_SE
	s_wait_loadcnt_dscnt 0x0
	s_barrier_signal -1
	s_barrier_wait -1
	global_inv scope:SCOPE_SE
	v_mul_f64_e32 v[34:35], v[14:15], v[92:93]
	v_mul_f64_e32 v[32:33], v[2:3], v[50:51]
	;; [unrolled: 1-line block ×16, first 2 shown]
	v_fma_f64 v[46:47], v[66:67], v[90:91], -v[34:35]
	v_fma_f64 v[44:45], v[58:59], v[48:49], -v[32:33]
	v_fma_f64 v[34:35], v[68:69], v[94:95], -v[36:37]
	v_fma_f64 v[40:41], v[72:73], v[98:99], -v[38:39]
	v_fma_f64 v[36:37], v[70:71], v[102:103], -v[42:43]
	v_fma_f64 v[42:43], v[74:75], v[106:107], -v[126:127]
	v_fma_f64 v[32:33], v[64:65], v[110:111], -v[128:129]
	v_fma_f64 v[38:39], v[85:86], v[114:115], -v[130:131]
	v_fma_f64 v[48:49], v[2:3], v[48:49], v[50:51]
	v_fma_f64 v[2:3], v[14:15], v[90:91], v[92:93]
	;; [unrolled: 1-line block ×8, first 2 shown]
	v_mul_f64_e32 v[66:67], v[10:11], v[120:121]
	v_mul_f64_e32 v[68:69], v[54:55], v[120:121]
	;; [unrolled: 1-line block ×4, first 2 shown]
	v_add_f64_e32 v[50:51], v[44:45], v[46:47]
	v_add_f64_e32 v[72:73], v[83:84], v[44:45]
	;; [unrolled: 1-line block ×8, first 2 shown]
	v_add_f64_e64 v[74:75], v[48:49], -v[2:3]
	v_add_f64_e64 v[94:95], v[20:21], -v[14:15]
	v_fma_f64 v[28:29], v[28:29], v[122:123], -v[70:71]
	v_fma_f64 v[26:27], v[26:27], v[122:123], v[96:97]
	v_fma_f64 v[83:84], v[50:51], -0.5, v[83:84]
	v_fma_f64 v[50:51], v[54:55], v[118:119], -v[66:67]
	v_fma_f64 v[58:59], v[58:59], -0.5, v[60:61]
	v_add_f64_e64 v[60:61], v[16:17], -v[18:19]
	v_fma_f64 v[62:63], v[64:65], -0.5, v[62:63]
	v_add_f64_e64 v[64:65], v[22:23], -v[12:13]
	v_fma_f64 v[56:57], v[30:31], -0.5, v[56:57]
	v_fma_f64 v[30:31], v[10:11], v[118:119], v[68:69]
	v_add_f64_e32 v[10:11], v[72:73], v[46:47]
	v_add_f64_e32 v[66:67], v[85:86], v[40:41]
	;; [unrolled: 1-line block ×4, first 2 shown]
	v_and_b32_e32 v55, 0xffff, v132
	v_lshlrev_b32_e32 v54, 3, v89
	v_lshlrev_b32_e32 v93, 3, v138
	s_delay_alu instid0(VALU_DEP_3)
	v_mad_u32_u24 v55, 0x138, v55, 0
	v_fma_f64 v[72:73], v[74:75], s[4:5], v[83:84]
	s_wait_alu 0xfffe
	v_fma_f64 v[74:75], v[74:75], s[10:11], v[83:84]
	v_fma_f64 v[83:84], v[94:95], s[4:5], v[58:59]
	;; [unrolled: 1-line block ×7, first 2 shown]
	v_and_b32_e32 v56, 0xffff, v133
	v_and_b32_e32 v57, 0xffff, v134
	;; [unrolled: 1-line block ×3, first 2 shown]
	v_lshlrev_b32_e32 v59, 3, v136
	v_lshlrev_b32_e32 v94, 3, v139
	v_mad_u32_u24 v89, 0x138, v56, 0
	v_mad_u32_u24 v57, 0x138, v57, 0
	;; [unrolled: 1-line block ×3, first 2 shown]
	v_lshlrev_b32_e32 v58, 3, v137
	v_add3_u32 v56, v55, v59, v54
	v_lshlrev_b32_e32 v55, 3, v140
	s_delay_alu instid0(VALU_DEP_3)
	v_add3_u32 v59, v89, v58, v54
	v_add3_u32 v58, v57, v93, v54
	;; [unrolled: 1-line block ×3, first 2 shown]
	ds_store_2addr_b64 v56, v[10:11], v[72:73] offset1:13
	ds_store_b64 v56, v[74:75] offset:208
	ds_store_2addr_b64 v59, v[66:67], v[83:84] offset1:13
	ds_store_b64 v59, v[85:86] offset:208
	;; [unrolled: 2-line block ×4, first 2 shown]
	s_and_saveexec_b32 s1, s0
	s_cbranch_execz .LBB0_18
; %bb.17:
	v_add_f64_e32 v[10:11], v[50:51], v[28:29]
	v_add_f64_e64 v[60:61], v[30:31], -v[26:27]
	v_add_f64_e32 v[62:63], v[52:53], v[50:51]
	s_delay_alu instid0(VALU_DEP_3) | instskip(NEXT) | instid1(VALU_DEP_2)
	v_fma_f64 v[10:11], v[10:11], -0.5, v[52:53]
	v_add_f64_e32 v[52:53], v[62:63], v[28:29]
	s_delay_alu instid0(VALU_DEP_2) | instskip(SKIP_2) | instid1(VALU_DEP_1)
	v_fma_f64 v[62:63], v[60:61], s[4:5], v[10:11]
	v_fma_f64 v[10:11], v[60:61], s[10:11], v[10:11]
	v_add3_u32 v60, 0, v55, v54
	v_add_nc_u32_e32 v61, 0x800, v60
	ds_store_2addr_b64 v61, v[52:53], v[62:63] offset0:212 offset1:225
	ds_store_b64 v60, v[10:11] offset:3952
.LBB0_18:
	s_wait_alu 0xfffe
	s_or_b32 exec_lo, exec_lo, s1
	v_add_f64_e32 v[10:11], v[48:49], v[2:3]
	v_add_f64_e32 v[52:53], v[20:21], v[14:15]
	;; [unrolled: 1-line block ×5, first 2 shown]
	v_add_f64_e64 v[44:45], v[44:45], -v[46:47]
	v_add_f64_e32 v[20:21], v[4:5], v[20:21]
	v_add_f64_e32 v[22:23], v[0:1], v[22:23]
	v_add_f64_e64 v[32:33], v[32:33], -v[38:39]
	v_add_f64_e32 v[16:17], v[6:7], v[16:17]
	global_wb scope:SCOPE_SE
	s_wait_dscnt 0x0
	s_barrier_signal -1
	s_barrier_wait -1
	global_inv scope:SCOPE_SE
	v_fma_f64 v[10:11], v[10:11], -0.5, v[24:25]
	v_add_f64_e64 v[24:25], v[34:35], -v[40:41]
	v_fma_f64 v[4:5], v[52:53], -0.5, v[4:5]
	v_fma_f64 v[0:1], v[62:63], -0.5, v[0:1]
	v_add_f64_e64 v[34:35], v[36:37], -v[42:43]
	v_fma_f64 v[6:7], v[60:61], -0.5, v[6:7]
	v_add_f64_e32 v[36:37], v[48:49], v[2:3]
	v_add_f64_e32 v[38:39], v[20:21], v[14:15]
	;; [unrolled: 1-line block ×4, first 2 shown]
	v_fma_f64 v[52:53], v[44:45], s[10:11], v[10:11]
	v_fma_f64 v[60:61], v[44:45], s[4:5], v[10:11]
	;; [unrolled: 1-line block ×5, first 2 shown]
	v_lshlrev_b32_e32 v0, 3, v82
	v_fma_f64 v[24:25], v[24:25], s[4:5], v[4:5]
	v_fma_f64 v[64:65], v[34:35], s[10:11], v[6:7]
	;; [unrolled: 1-line block ×3, first 2 shown]
	s_delay_alu instid0(VALU_DEP_4)
	v_add3_u32 v46, 0, v0, v54
	ds_load_2addr_b64 v[4:7], v87 offset0:39 offset1:78
	ds_load_2addr_b64 v[18:21], v46 offset0:156 offset1:195
	v_add_nc_u32_e32 v0, 0x400, v46
	v_add_nc_u32_e32 v10, 0x800, v46
	ds_load_b64 v[22:23], v88
	ds_load_b64 v[42:43], v87 offset:936
	ds_load_b64 v[44:45], v46 offset:3744
	ds_load_2addr_b64 v[0:3], v0 offset0:106 offset1:145
	ds_load_2addr_b64 v[14:17], v10 offset0:56 offset1:95
	;; [unrolled: 1-line block ×3, first 2 shown]
	global_wb scope:SCOPE_SE
	s_wait_dscnt 0x0
	s_barrier_signal -1
	s_barrier_wait -1
	global_inv scope:SCOPE_SE
	ds_store_2addr_b64 v56, v[36:37], v[52:53] offset1:13
	ds_store_b64 v56, v[60:61] offset:208
	ds_store_2addr_b64 v59, v[38:39], v[62:63] offset1:13
	ds_store_b64 v59, v[24:25] offset:208
	;; [unrolled: 2-line block ×4, first 2 shown]
	s_and_saveexec_b32 s1, s0
	s_cbranch_execz .LBB0_20
; %bb.19:
	v_add_f64_e32 v[24:25], v[30:31], v[26:27]
	v_add_f64_e64 v[28:29], v[50:51], -v[28:29]
	s_mov_b32 s5, 0xbfebb67a
	s_mov_b32 s4, 0xe8584caa
	s_delay_alu instid0(VALU_DEP_2) | instskip(SKIP_2) | instid1(VALU_DEP_2)
	v_fma_f64 v[24:25], v[24:25], -0.5, v[8:9]
	v_add_f64_e32 v[8:9], v[8:9], v[30:31]
	s_wait_alu 0xfffe
	v_fma_f64 v[30:31], v[28:29], s[4:5], v[24:25]
	s_mov_b32 s5, 0x3febb67a
	s_delay_alu instid0(VALU_DEP_2) | instskip(SKIP_3) | instid1(VALU_DEP_1)
	v_add_f64_e32 v[8:9], v[8:9], v[26:27]
	s_wait_alu 0xfffe
	v_fma_f64 v[24:25], v[28:29], s[4:5], v[24:25]
	v_add3_u32 v26, 0, v55, v54
	v_add_nc_u32_e32 v27, 0x800, v26
	ds_store_2addr_b64 v27, v[8:9], v[30:31] offset0:212 offset1:225
	ds_store_b64 v26, v[24:25] offset:3952
.LBB0_20:
	s_wait_alu 0xfffe
	s_or_b32 exec_lo, exec_lo, s1
	global_wb scope:SCOPE_SE
	s_wait_dscnt 0x0
	s_barrier_signal -1
	s_barrier_wait -1
	global_inv scope:SCOPE_SE
	s_and_saveexec_b32 s0, vcc_lo
	s_cbranch_execz .LBB0_22
; %bb.21:
	v_mul_u32_u24_e32 v8, 12, v82
	v_add_nc_u32_e32 v41, 0x800, v46
	s_mov_b32 s0, 0x93053d00
	s_mov_b32 s1, 0xbfef11f4
	s_mov_b32 s4, 0x4bc48dbf
	v_lshlrev_b32_e32 v40, 4, v8
	s_mov_b32 s5, 0x3fcea1e5
	s_mov_b32 s10, 0x4267c47c
	s_mov_b32 s11, 0xbfddbe06
	s_mov_b32 s19, 0xbfcea1e5
	s_clause 0x1
	global_load_b128 v[24:27], v40, s[8:9] offset:480
	global_load_b128 v[47:50], v40, s[8:9] offset:496
	ds_load_2addr_b64 v[28:31], v46 offset0:156 offset1:195
	s_wait_alu 0xfffe
	s_mov_b32 s18, s4
	s_mov_b32 s15, 0x3fddbe06
	;; [unrolled: 1-line block ×8, first 2 shown]
	s_wait_alu 0xfffe
	s_mov_b32 s22, s16
	s_mov_b32 s20, 0x1ea71119
	s_mov_b32 s21, 0x3fe22d96
	s_mov_b32 s24, 0x42a4c3d2
	s_mov_b32 s25, 0xbfea55e2
	s_mov_b32 s31, 0x3fea55e2
	s_wait_alu 0xfffe
	s_mov_b32 s30, s24
	s_mov_b32 s26, 0xb2365da1
	s_mov_b32 s27, 0xbfd6b1d8
	s_mov_b32 s28, 0x2ef20147
	s_mov_b32 s29, 0x3fedeba7
	s_mov_b32 s39, 0xbfedeba7
	;; [unrolled: 7-line block ×3, first 2 shown]
	s_wait_alu 0xfffe
	s_mov_b32 s36, s40
	s_wait_loadcnt 0x1
	v_mul_f64_e32 v[8:9], v[20:21], v[26:27]
	s_wait_dscnt 0x0
	v_mul_f64_e32 v[26:27], v[30:31], v[26:27]
	s_delay_alu instid0(VALU_DEP_2)
	v_fma_f64 v[8:9], v[30:31], v[24:25], v[8:9]
	s_clause 0x1
	global_load_b128 v[30:33], v40, s[8:9] offset:464
	global_load_b128 v[52:55], v40, s[8:9] offset:448
	v_fma_f64 v[20:21], v[20:21], v[24:25], -v[26:27]
	s_wait_loadcnt 0x1
	v_mul_f64_e32 v[24:25], v[18:19], v[32:33]
	v_mul_f64_e32 v[26:27], v[28:29], v[32:33]
	s_delay_alu instid0(VALU_DEP_2) | instskip(NEXT) | instid1(VALU_DEP_2)
	v_fma_f64 v[24:25], v[28:29], v[30:31], v[24:25]
	v_fma_f64 v[26:27], v[18:19], v[30:31], -v[26:27]
	s_clause 0x1
	global_load_b128 v[28:31], v40, s[8:9] offset:528
	global_load_b128 v[56:59], v40, s[8:9] offset:512
	ds_load_2addr_b64 v[32:35], v41 offset0:56 offset1:95
	s_wait_loadcnt 0x1
	v_mul_f64_e32 v[18:19], v[14:15], v[30:31]
	s_wait_dscnt 0x0
	v_mul_f64_e32 v[30:31], v[32:33], v[30:31]
	s_delay_alu instid0(VALU_DEP_2) | instskip(NEXT) | instid1(VALU_DEP_2)
	v_fma_f64 v[18:19], v[32:33], v[28:29], v[18:19]
	v_fma_f64 v[14:15], v[14:15], v[28:29], -v[30:31]
	s_clause 0x1
	global_load_b128 v[30:33], v40, s[8:9] offset:544
	global_load_b128 v[36:39], v40, s[8:9] offset:560
	v_add_f64_e32 v[130:131], v[8:9], v[18:19]
	v_add_f64_e64 v[132:133], v[20:21], -v[14:15]
	v_add_f64_e64 v[134:135], v[8:9], -v[18:19]
	v_add_f64_e32 v[136:137], v[20:21], v[14:15]
	s_delay_alu instid0(VALU_DEP_4) | instskip(SKIP_1) | instid1(VALU_DEP_4)
	v_mul_f64_e32 v[150:151], s[0:1], v[130:131]
	v_mul_f64_e32 v[174:175], s[34:35], v[130:131]
	;; [unrolled: 1-line block ×3, first 2 shown]
	s_wait_alu 0xfffe
	v_mul_f64_e32 v[176:177], s[36:37], v[134:135]
	s_wait_loadcnt 0x1
	v_mul_f64_e32 v[28:29], v[16:17], v[32:33]
	v_mul_f64_e32 v[32:33], v[34:35], v[32:33]
	s_delay_alu instid0(VALU_DEP_2) | instskip(NEXT) | instid1(VALU_DEP_2)
	v_fma_f64 v[28:29], v[34:35], v[30:31], v[28:29]
	v_fma_f64 v[16:17], v[16:17], v[30:31], -v[32:33]
	s_wait_loadcnt 0x0
	v_mul_f64_e32 v[30:31], v[10:11], v[38:39]
	ds_load_2addr_b64 v[32:35], v41 offset0:134 offset1:173
	v_add_f64_e32 v[122:123], v[24:25], v[28:29]
	v_add_f64_e64 v[124:125], v[26:27], -v[16:17]
	s_wait_dscnt 0x0
	v_fma_f64 v[30:31], v[32:33], v[36:37], v[30:31]
	v_mul_f64_e32 v[32:33], v[32:33], v[38:39]
	v_add_f64_e64 v[126:127], v[24:25], -v[28:29]
	v_add_f64_e32 v[128:129], v[26:27], v[16:17]
	v_mul_f64_e32 v[146:147], s[34:35], v[122:123]
	v_mul_f64_e32 v[170:171], s[12:13], v[122:123]
	v_fma_f64 v[10:11], v[10:11], v[36:37], -v[32:33]
	s_clause 0x1
	global_load_b128 v[36:39], v40, s[8:9] offset:576
	global_load_b128 v[60:63], v40, s[8:9] offset:592
	v_mul_f64_e32 v[148:149], s[40:41], v[126:127]
	v_mul_f64_e32 v[172:173], s[16:17], v[126:127]
	s_wait_loadcnt 0x1
	v_mul_f64_e32 v[32:33], v[12:13], v[38:39]
	s_delay_alu instid0(VALU_DEP_1) | instskip(SKIP_1) | instid1(VALU_DEP_1)
	v_fma_f64 v[32:33], v[34:35], v[36:37], v[32:33]
	v_mul_f64_e32 v[34:35], v[34:35], v[38:39]
	v_fma_f64 v[12:13], v[12:13], v[36:37], -v[34:35]
	s_clause 0x1
	global_load_b128 v[36:39], v40, s[8:9] offset:432
	global_load_b128 v[64:67], v40, s[8:9] offset:416
	ds_load_2addr_b64 v[68:71], v87 offset0:39 offset1:78
	v_add_nc_u32_e32 v40, 0x400, v46
	s_mov_b32 s8, 0xe00740e9
	s_mov_b32 s9, 0x3fec55a7
	s_wait_loadcnt 0x1
	v_mul_f64_e32 v[34:35], v[6:7], v[38:39]
	s_wait_dscnt 0x0
	v_mul_f64_e32 v[38:39], v[70:71], v[38:39]
	s_delay_alu instid0(VALU_DEP_2) | instskip(NEXT) | instid1(VALU_DEP_2)
	v_fma_f64 v[34:35], v[70:71], v[36:37], v[34:35]
	v_fma_f64 v[6:7], v[6:7], v[36:37], -v[38:39]
	s_wait_loadcnt 0x0
	v_mul_f64_e32 v[36:37], v[4:5], v[66:67]
	v_mul_f64_e32 v[38:39], v[68:69], v[66:67]
	s_delay_alu instid0(VALU_DEP_2) | instskip(NEXT) | instid1(VALU_DEP_2)
	v_fma_f64 v[36:37], v[68:69], v[64:65], v[36:37]
	v_fma_f64 v[4:5], v[4:5], v[64:65], -v[38:39]
	ds_load_2addr_b64 v[64:67], v40 offset0:106 offset1:145
	v_mul_f64_e32 v[38:39], v[0:1], v[49:50]
	v_add_f64_e64 v[68:69], v[34:35], -v[32:33]
	s_wait_dscnt 0x0
	v_mul_f64_e32 v[40:41], v[64:65], v[49:50]
	s_delay_alu instid0(VALU_DEP_3) | instskip(NEXT) | instid1(VALU_DEP_3)
	v_fma_f64 v[38:39], v[64:65], v[47:48], v[38:39]
	v_mul_f64_e32 v[164:165], s[38:39], v[68:69]
	v_mul_f64_e32 v[188:189], s[18:19], v[68:69]
	s_delay_alu instid0(VALU_DEP_4) | instskip(SKIP_2) | instid1(VALU_DEP_2)
	v_fma_f64 v[0:1], v[0:1], v[47:48], -v[40:41]
	v_mul_f64_e32 v[40:41], v[2:3], v[58:59]
	v_mul_f64_e32 v[47:48], v[66:67], v[58:59]
	v_fma_f64 v[40:41], v[66:67], v[56:57], v[40:41]
	s_delay_alu instid0(VALU_DEP_2)
	v_fma_f64 v[2:3], v[2:3], v[56:57], -v[47:48]
	ds_load_b64 v[56:57], v46 offset:3744
	ds_load_b64 v[48:49], v87 offset:936
	ds_load_b64 v[50:51], v88
	v_mul_f64_e32 v[46:47], v[42:43], v[54:55]
	v_mul_f64_e32 v[88:89], s[14:15], v[68:69]
	v_add_f64_e32 v[138:139], v[38:39], v[40:41]
	v_add_f64_e64 v[142:143], v[38:39], -v[40:41]
	v_add_f64_e64 v[140:141], v[0:1], -v[2:3]
	s_wait_dscnt 0x1
	v_fma_f64 v[46:47], v[48:49], v[52:53], v[46:47]
	v_mul_f64_e32 v[48:49], v[48:49], v[54:55]
	v_add_f64_e32 v[144:145], v[0:1], v[2:3]
	v_mul_f64_e32 v[104:105], s[34:35], v[138:139]
	v_mul_f64_e32 v[106:107], s[36:37], v[142:143]
	;; [unrolled: 1-line block ×3, first 2 shown]
	v_add_f64_e64 v[118:119], v[46:47], -v[30:31]
	v_fma_f64 v[48:49], v[42:43], v[52:53], -v[48:49]
	v_mul_f64_e32 v[42:43], v[44:45], v[62:63]
	v_mul_f64_e32 v[52:53], v[56:57], v[62:63]
	v_add_f64_e32 v[62:63], v[34:35], v[32:33]
	v_mul_f64_e32 v[114:115], s[38:39], v[142:143]
	v_mul_f64_e32 v[154:155], s[20:21], v[138:139]
	;; [unrolled: 1-line block ×10, first 2 shown]
	v_add_f64_e32 v[120:121], v[48:49], v[10:11]
	v_fma_f64 v[42:43], v[56:57], v[60:61], v[42:43]
	v_fma_f64 v[44:45], v[44:45], v[60:61], -v[52:53]
	v_mul_f64_e32 v[74:75], s[8:9], v[62:63]
	v_mul_f64_e32 v[160:161], s[26:27], v[62:63]
	;; [unrolled: 1-line block ×4, first 2 shown]
	v_add_f64_e32 v[52:53], v[36:37], v[42:43]
	v_add_f64_e64 v[54:55], v[4:5], -v[44:45]
	v_add_f64_e64 v[66:67], v[36:37], -v[42:43]
	s_wait_dscnt 0x0
	v_add_f64_e32 v[36:37], v[50:51], v[36:37]
	s_delay_alu instid0(VALU_DEP_4) | instskip(SKIP_1) | instid1(VALU_DEP_4)
	v_mul_f64_e32 v[72:73], s[0:1], v[52:53]
	v_mul_f64_e32 v[158:159], s[20:21], v[52:53]
	;; [unrolled: 1-line block ×6, first 2 shown]
	v_fma_f64 v[56:57], v[54:55], s[4:5], v[72:73]
	v_fma_f64 v[72:73], v[54:55], s[18:19], v[72:73]
	s_delay_alu instid0(VALU_DEP_2) | instskip(SKIP_1) | instid1(VALU_DEP_3)
	v_add_f64_e32 v[58:59], v[50:51], v[56:57]
	v_add_f64_e64 v[56:57], v[6:7], -v[12:13]
	v_add_f64_e32 v[72:73], v[50:51], v[72:73]
	s_delay_alu instid0(VALU_DEP_2) | instskip(SKIP_1) | instid1(VALU_DEP_2)
	v_fma_f64 v[60:61], v[56:57], s[10:11], v[74:75]
	v_fma_f64 v[74:75], v[56:57], s[14:15], v[74:75]
	v_add_f64_e32 v[82:83], v[60:61], v[58:59]
	v_add_f64_e32 v[58:59], v[4:5], v[44:45]
	s_delay_alu instid0(VALU_DEP_3) | instskip(SKIP_1) | instid1(VALU_DEP_3)
	v_add_f64_e32 v[72:73], v[74:75], v[72:73]
	v_add_f64_e32 v[4:5], v[22:23], v[4:5]
	v_fma_f64 v[60:61], v[58:59], s[0:1], v[86:87]
	v_fma_f64 v[74:75], v[58:59], s[0:1], -v[86:87]
	s_delay_alu instid0(VALU_DEP_3) | instskip(NEXT) | instid1(VALU_DEP_3)
	v_add_f64_e32 v[4:5], v[6:7], v[4:5]
	v_add_f64_e32 v[64:65], v[22:23], v[60:61]
	;; [unrolled: 1-line block ×3, first 2 shown]
	s_delay_alu instid0(VALU_DEP_4) | instskip(NEXT) | instid1(VALU_DEP_4)
	v_add_f64_e32 v[74:75], v[22:23], v[74:75]
	v_add_f64_e32 v[4:5], v[48:49], v[4:5]
	s_delay_alu instid0(VALU_DEP_3)
	v_fma_f64 v[70:71], v[60:61], s[8:9], v[88:89]
	v_fma_f64 v[86:87], v[60:61], s[8:9], -v[88:89]
	v_fma_f64 v[88:89], v[144:145], s[34:35], -v[106:107]
	;; [unrolled: 1-line block ×3, first 2 shown]
	v_add_f64_e32 v[4:5], v[26:27], v[4:5]
	v_add_f64_e32 v[84:85], v[70:71], v[64:65]
	;; [unrolled: 1-line block ×3, first 2 shown]
	v_add_f64_e64 v[64:65], v[48:49], -v[10:11]
	v_add_f64_e32 v[74:75], v[86:87], v[74:75]
	v_add_f64_e32 v[4:5], v[20:21], v[4:5]
	s_delay_alu instid0(VALU_DEP_4) | instskip(SKIP_1) | instid1(VALU_DEP_3)
	v_mul_f64_e32 v[90:91], s[12:13], v[70:71]
	v_mul_f64_e32 v[166:167], s[0:1], v[70:71]
	v_add_f64_e32 v[0:1], v[0:1], v[4:5]
	s_delay_alu instid0(VALU_DEP_3) | instskip(SKIP_2) | instid1(VALU_DEP_4)
	v_fma_f64 v[92:93], v[64:65], s[16:17], v[90:91]
	v_fma_f64 v[86:87], v[64:65], s[22:23], v[90:91]
	v_mul_f64_e32 v[90:91], s[12:13], v[52:53]
	v_add_f64_e32 v[0:1], v[2:3], v[0:1]
	s_delay_alu instid0(VALU_DEP_4) | instskip(SKIP_2) | instid1(VALU_DEP_4)
	v_add_f64_e32 v[82:83], v[92:93], v[82:83]
	v_mul_f64_e32 v[92:93], s[22:23], v[118:119]
	v_add_f64_e32 v[72:73], v[86:87], v[72:73]
	v_add_f64_e32 v[0:1], v[14:15], v[0:1]
	s_delay_alu instid0(VALU_DEP_3) | instskip(SKIP_2) | instid1(VALU_DEP_4)
	v_fma_f64 v[94:95], v[120:121], s[12:13], v[92:93]
	v_fma_f64 v[86:87], v[120:121], s[12:13], -v[92:93]
	v_mul_f64_e32 v[92:93], s[34:35], v[62:63]
	v_add_f64_e32 v[0:1], v[16:17], v[0:1]
	s_delay_alu instid0(VALU_DEP_4) | instskip(SKIP_2) | instid1(VALU_DEP_4)
	v_add_f64_e32 v[84:85], v[94:95], v[84:85]
	v_mul_f64_e32 v[94:95], s[20:21], v[122:123]
	v_add_f64_e32 v[74:75], v[86:87], v[74:75]
	v_add_f64_e32 v[0:1], v[10:11], v[0:1]
	s_delay_alu instid0(VALU_DEP_3) | instskip(SKIP_2) | instid1(VALU_DEP_4)
	v_fma_f64 v[96:97], v[124:125], s[24:25], v[94:95]
	v_fma_f64 v[86:87], v[124:125], s[30:31], v[94:95]
	v_mul_f64_e32 v[94:95], s[22:23], v[66:67]
	v_add_f64_e32 v[0:1], v[12:13], v[0:1]
	s_delay_alu instid0(VALU_DEP_4) | instskip(SKIP_2) | instid1(VALU_DEP_4)
	v_add_f64_e32 v[82:83], v[96:97], v[82:83]
	v_mul_f64_e32 v[96:97], s[30:31], v[126:127]
	v_add_f64_e32 v[72:73], v[86:87], v[72:73]
	v_add_f64_e32 v[0:1], v[44:45], v[0:1]
	s_delay_alu instid0(VALU_DEP_3) | instskip(SKIP_2) | instid1(VALU_DEP_3)
	v_fma_f64 v[98:99], v[128:129], s[20:21], v[96:97]
	v_fma_f64 v[86:87], v[128:129], s[20:21], -v[96:97]
	v_mul_f64_e32 v[96:97], s[36:37], v[68:69]
	v_add_f64_e32 v[84:85], v[98:99], v[84:85]
	v_mul_f64_e32 v[98:99], s[26:27], v[130:131]
	s_delay_alu instid0(VALU_DEP_4) | instskip(NEXT) | instid1(VALU_DEP_2)
	v_add_f64_e32 v[74:75], v[86:87], v[74:75]
	v_fma_f64 v[100:101], v[132:133], s[28:29], v[98:99]
	v_fma_f64 v[86:87], v[132:133], s[38:39], v[98:99]
	;; [unrolled: 1-line block ×3, first 2 shown]
	s_delay_alu instid0(VALU_DEP_3) | instskip(SKIP_1) | instid1(VALU_DEP_4)
	v_add_f64_e32 v[82:83], v[100:101], v[82:83]
	v_mul_f64_e32 v[100:101], s[38:39], v[134:135]
	v_add_f64_e32 v[72:73], v[86:87], v[72:73]
	s_delay_alu instid0(VALU_DEP_2) | instskip(SKIP_1) | instid1(VALU_DEP_2)
	v_fma_f64 v[86:87], v[136:137], s[26:27], -v[100:101]
	v_fma_f64 v[102:103], v[136:137], s[26:27], v[100:101]
	v_add_f64_e32 v[86:87], v[86:87], v[74:75]
	v_fma_f64 v[74:75], v[140:141], s[36:37], v[104:105]
	s_delay_alu instid0(VALU_DEP_3) | instskip(SKIP_1) | instid1(VALU_DEP_3)
	v_add_f64_e32 v[102:103], v[102:103], v[84:85]
	v_fma_f64 v[84:85], v[140:141], s[40:41], v[104:105]
	v_add_f64_e32 v[74:75], v[74:75], v[72:73]
	v_add_f64_e32 v[72:73], v[88:89], v[86:87]
	v_fma_f64 v[86:87], v[54:55], s[16:17], v[90:91]
	v_fma_f64 v[88:89], v[56:57], s[40:41], v[92:93]
	v_add_f64_e32 v[84:85], v[84:85], v[82:83]
	v_fma_f64 v[82:83], v[144:145], s[34:35], v[106:107]
	v_fma_f64 v[90:91], v[54:55], s[22:23], v[90:91]
	;; [unrolled: 1-line block ×3, first 2 shown]
	v_add_f64_e32 v[86:87], v[50:51], v[86:87]
	s_delay_alu instid0(VALU_DEP_4) | instskip(NEXT) | instid1(VALU_DEP_4)
	v_add_f64_e32 v[82:83], v[82:83], v[102:103]
	v_add_f64_e32 v[90:91], v[50:51], v[90:91]
	s_delay_alu instid0(VALU_DEP_3) | instskip(SKIP_1) | instid1(VALU_DEP_3)
	v_add_f64_e32 v[86:87], v[88:89], v[86:87]
	v_fma_f64 v[88:89], v[58:59], s[12:13], v[94:95]
	v_add_f64_e32 v[90:91], v[92:93], v[90:91]
	v_fma_f64 v[92:93], v[58:59], s[12:13], -v[94:95]
	v_fma_f64 v[94:95], v[60:61], s[34:35], -v[96:97]
	;; [unrolled: 1-line block ×3, first 2 shown]
	v_add_f64_e32 v[88:89], v[22:23], v[88:89]
	s_delay_alu instid0(VALU_DEP_4) | instskip(NEXT) | instid1(VALU_DEP_2)
	v_add_f64_e32 v[92:93], v[22:23], v[92:93]
	v_add_f64_e32 v[88:89], v[98:99], v[88:89]
	v_mul_f64_e32 v[98:99], s[20:21], v[70:71]
	s_delay_alu instid0(VALU_DEP_3) | instskip(NEXT) | instid1(VALU_DEP_2)
	v_add_f64_e32 v[92:93], v[94:95], v[92:93]
	v_fma_f64 v[100:101], v[64:65], s[30:31], v[98:99]
	v_fma_f64 v[94:95], v[64:65], s[24:25], v[98:99]
	s_delay_alu instid0(VALU_DEP_2) | instskip(SKIP_1) | instid1(VALU_DEP_3)
	v_add_f64_e32 v[86:87], v[100:101], v[86:87]
	v_mul_f64_e32 v[100:101], s[24:25], v[118:119]
	v_add_f64_e32 v[90:91], v[94:95], v[90:91]
	s_delay_alu instid0(VALU_DEP_2) | instskip(SKIP_2) | instid1(VALU_DEP_3)
	v_fma_f64 v[102:103], v[120:121], s[20:21], v[100:101]
	v_fma_f64 v[94:95], v[120:121], s[20:21], -v[100:101]
	v_fma_f64 v[100:101], v[56:57], s[38:39], v[160:161]
	v_add_f64_e32 v[88:89], v[102:103], v[88:89]
	v_mul_f64_e32 v[102:103], s[0:1], v[122:123]
	s_delay_alu instid0(VALU_DEP_4) | instskip(NEXT) | instid1(VALU_DEP_2)
	v_add_f64_e32 v[92:93], v[94:95], v[92:93]
	v_fma_f64 v[104:105], v[124:125], s[18:19], v[102:103]
	v_fma_f64 v[94:95], v[124:125], s[4:5], v[102:103]
	v_fma_f64 v[102:103], v[60:61], s[26:27], -v[164:165]
	s_delay_alu instid0(VALU_DEP_3) | instskip(SKIP_1) | instid1(VALU_DEP_4)
	v_add_f64_e32 v[86:87], v[104:105], v[86:87]
	v_mul_f64_e32 v[104:105], s[4:5], v[126:127]
	v_add_f64_e32 v[90:91], v[94:95], v[90:91]
	s_delay_alu instid0(VALU_DEP_2) | instskip(SKIP_2) | instid1(VALU_DEP_3)
	v_fma_f64 v[106:107], v[128:129], s[0:1], v[104:105]
	v_fma_f64 v[94:95], v[128:129], s[0:1], -v[104:105]
	v_fma_f64 v[104:105], v[56:57], s[18:19], v[184:185]
	v_add_f64_e32 v[88:89], v[106:107], v[88:89]
	v_mul_f64_e32 v[106:107], s[8:9], v[130:131]
	s_delay_alu instid0(VALU_DEP_4) | instskip(NEXT) | instid1(VALU_DEP_2)
	v_add_f64_e32 v[92:93], v[94:95], v[92:93]
	v_fma_f64 v[108:109], v[132:133], s[10:11], v[106:107]
	v_fma_f64 v[94:95], v[132:133], s[14:15], v[106:107]
	v_mul_f64_e32 v[106:107], s[26:27], v[52:53]
	v_mul_f64_e32 v[52:53], s[8:9], v[52:53]
	s_delay_alu instid0(VALU_DEP_4) | instskip(SKIP_2) | instid1(VALU_DEP_2)
	v_add_f64_e32 v[86:87], v[108:109], v[86:87]
	v_mul_f64_e32 v[108:109], s[14:15], v[134:135]
	v_add_f64_e32 v[90:91], v[94:95], v[90:91]
	v_fma_f64 v[110:111], v[136:137], s[8:9], v[108:109]
	v_fma_f64 v[94:95], v[136:137], s[8:9], -v[108:109]
	v_mul_f64_e32 v[108:109], s[12:13], v[62:63]
	v_mul_f64_e32 v[62:63], s[20:21], v[62:63]
	s_delay_alu instid0(VALU_DEP_4) | instskip(SKIP_4) | instid1(VALU_DEP_4)
	v_add_f64_e32 v[110:111], v[110:111], v[88:89]
	v_fma_f64 v[88:89], v[140:141], s[28:29], v[112:113]
	v_add_f64_e32 v[94:95], v[94:95], v[92:93]
	v_fma_f64 v[92:93], v[140:141], s[38:39], v[112:113]
	v_mul_f64_e32 v[112:113], s[16:17], v[68:69]
	v_add_f64_e32 v[88:89], v[88:89], v[86:87]
	v_fma_f64 v[86:87], v[144:145], s[26:27], v[114:115]
	s_delay_alu instid0(VALU_DEP_4)
	v_add_f64_e32 v[92:93], v[92:93], v[90:91]
	v_add_f64_e32 v[90:91], v[96:97], v[94:95]
	v_fma_f64 v[94:95], v[54:55], s[28:29], v[106:107]
	v_fma_f64 v[96:97], v[56:57], s[22:23], v[108:109]
	;; [unrolled: 1-line block ×3, first 2 shown]
	v_mul_f64_e32 v[114:115], s[8:9], v[70:71]
	v_fma_f64 v[106:107], v[54:55], s[38:39], v[106:107]
	v_fma_f64 v[108:109], v[56:57], s[16:17], v[108:109]
	v_add_f64_e32 v[86:87], v[86:87], v[110:111]
	v_mul_f64_e32 v[110:111], s[38:39], v[66:67]
	v_add_f64_e32 v[94:95], v[50:51], v[94:95]
	v_add_f64_e32 v[106:107], v[50:51], v[106:107]
	s_delay_alu instid0(VALU_DEP_2) | instskip(NEXT) | instid1(VALU_DEP_4)
	v_add_f64_e32 v[94:95], v[96:97], v[94:95]
	v_fma_f64 v[96:97], v[58:59], s[26:27], v[110:111]
	s_delay_alu instid0(VALU_DEP_3) | instskip(SKIP_4) | instid1(VALU_DEP_4)
	v_add_f64_e32 v[106:107], v[108:109], v[106:107]
	v_fma_f64 v[108:109], v[58:59], s[26:27], -v[110:111]
	v_fma_f64 v[110:111], v[60:61], s[12:13], -v[112:113]
	;; [unrolled: 1-line block ×3, first 2 shown]
	v_add_f64_e32 v[96:97], v[22:23], v[96:97]
	v_add_f64_e32 v[108:109], v[22:23], v[108:109]
	s_delay_alu instid0(VALU_DEP_2) | instskip(SKIP_1) | instid1(VALU_DEP_3)
	v_add_f64_e32 v[96:97], v[98:99], v[96:97]
	v_fma_f64 v[98:99], v[64:65], s[10:11], v[114:115]
	v_add_f64_e32 v[108:109], v[110:111], v[108:109]
	v_fma_f64 v[110:111], v[64:65], s[14:15], v[114:115]
	v_fma_f64 v[114:115], v[60:61], s[0:1], v[188:189]
	s_delay_alu instid0(VALU_DEP_4) | instskip(SKIP_1) | instid1(VALU_DEP_4)
	v_add_f64_e32 v[94:95], v[98:99], v[94:95]
	v_fma_f64 v[98:99], v[120:121], s[8:9], v[116:117]
	v_add_f64_e32 v[106:107], v[110:111], v[106:107]
	v_fma_f64 v[110:111], v[120:121], s[8:9], -v[116:117]
	v_fma_f64 v[116:117], v[144:145], s[12:13], v[206:207]
	s_delay_alu instid0(VALU_DEP_4) | instskip(SKIP_1) | instid1(VALU_DEP_4)
	v_add_f64_e32 v[96:97], v[98:99], v[96:97]
	v_fma_f64 v[98:99], v[124:125], s[36:37], v[146:147]
	v_add_f64_e32 v[108:109], v[110:111], v[108:109]
	v_fma_f64 v[110:111], v[124:125], s[40:41], v[146:147]
	v_fma_f64 v[146:147], v[60:61], s[26:27], v[164:165]
	s_delay_alu instid0(VALU_DEP_4) | instskip(SKIP_1) | instid1(VALU_DEP_4)
	v_add_f64_e32 v[94:95], v[98:99], v[94:95]
	v_fma_f64 v[98:99], v[128:129], s[34:35], v[148:149]
	v_add_f64_e32 v[106:107], v[110:111], v[106:107]
	v_fma_f64 v[110:111], v[128:129], s[34:35], -v[148:149]
	v_fma_f64 v[148:149], v[144:145], s[8:9], v[180:181]
	s_delay_alu instid0(VALU_DEP_4) | instskip(SKIP_1) | instid1(VALU_DEP_4)
	v_add_f64_e32 v[96:97], v[98:99], v[96:97]
	v_fma_f64 v[98:99], v[132:133], s[18:19], v[150:151]
	v_add_f64_e32 v[108:109], v[110:111], v[108:109]
	v_fma_f64 v[110:111], v[132:133], s[4:5], v[150:151]
	v_mul_f64_e32 v[150:151], s[24:25], v[68:69]
	s_delay_alu instid0(VALU_DEP_4) | instskip(SKIP_1) | instid1(VALU_DEP_4)
	v_add_f64_e32 v[94:95], v[98:99], v[94:95]
	v_fma_f64 v[98:99], v[136:137], s[0:1], v[152:153]
	v_add_f64_e32 v[106:107], v[110:111], v[106:107]
	v_fma_f64 v[110:111], v[136:137], s[0:1], -v[152:153]
	v_fma_f64 v[68:69], v[60:61], s[20:21], -v[150:151]
	v_fma_f64 v[60:61], v[60:61], s[20:21], v[150:151]
	v_add_f64_e32 v[98:99], v[98:99], v[96:97]
	v_fma_f64 v[96:97], v[140:141], s[24:25], v[154:155]
	v_add_f64_e32 v[110:111], v[110:111], v[108:109]
	v_fma_f64 v[108:109], v[140:141], s[30:31], v[154:155]
	s_delay_alu instid0(VALU_DEP_3) | instskip(SKIP_1) | instid1(VALU_DEP_3)
	v_add_f64_e32 v[96:97], v[96:97], v[94:95]
	v_fma_f64 v[94:95], v[144:145], s[20:21], v[156:157]
	v_add_f64_e32 v[108:109], v[108:109], v[106:107]
	v_add_f64_e32 v[106:107], v[112:113], v[110:111]
	v_fma_f64 v[110:111], v[54:55], s[36:37], v[182:183]
	v_fma_f64 v[112:113], v[56:57], s[4:5], v[184:185]
	v_add_f64_e32 v[94:95], v[94:95], v[98:99]
	v_fma_f64 v[98:99], v[54:55], s[24:25], v[158:159]
	s_delay_alu instid0(VALU_DEP_4) | instskip(NEXT) | instid1(VALU_DEP_2)
	v_add_f64_e32 v[110:111], v[50:51], v[110:111]
	v_add_f64_e32 v[98:99], v[50:51], v[98:99]
	s_delay_alu instid0(VALU_DEP_2) | instskip(SKIP_1) | instid1(VALU_DEP_3)
	v_add_f64_e32 v[110:111], v[112:113], v[110:111]
	v_fma_f64 v[112:113], v[58:59], s[34:35], v[186:187]
	v_add_f64_e32 v[98:99], v[100:101], v[98:99]
	v_fma_f64 v[100:101], v[58:59], s[20:21], -v[162:163]
	s_delay_alu instid0(VALU_DEP_3) | instskip(NEXT) | instid1(VALU_DEP_2)
	v_add_f64_e32 v[112:113], v[22:23], v[112:113]
	v_add_f64_e32 v[100:101], v[22:23], v[100:101]
	s_delay_alu instid0(VALU_DEP_2) | instskip(NEXT) | instid1(VALU_DEP_2)
	v_add_f64_e32 v[112:113], v[114:115], v[112:113]
	v_add_f64_e32 v[100:101], v[102:103], v[100:101]
	v_fma_f64 v[102:103], v[64:65], s[18:19], v[166:167]
	s_delay_alu instid0(VALU_DEP_1) | instskip(SKIP_1) | instid1(VALU_DEP_1)
	v_add_f64_e32 v[98:99], v[102:103], v[98:99]
	v_fma_f64 v[102:103], v[120:121], s[0:1], -v[168:169]
	v_add_f64_e32 v[100:101], v[102:103], v[100:101]
	v_fma_f64 v[102:103], v[124:125], s[16:17], v[170:171]
	s_delay_alu instid0(VALU_DEP_1) | instskip(SKIP_1) | instid1(VALU_DEP_1)
	v_add_f64_e32 v[98:99], v[102:103], v[98:99]
	v_fma_f64 v[102:103], v[128:129], s[12:13], -v[172:173]
	;; [unrolled: 5-line block ×4, first 2 shown]
	v_add_f64_e32 v[98:99], v[98:99], v[102:103]
	v_fma_f64 v[102:103], v[54:55], s[40:41], v[182:183]
	s_delay_alu instid0(VALU_DEP_1) | instskip(NEXT) | instid1(VALU_DEP_1)
	v_add_f64_e32 v[102:103], v[50:51], v[102:103]
	v_add_f64_e32 v[102:103], v[104:105], v[102:103]
	v_fma_f64 v[104:105], v[58:59], s[34:35], -v[186:187]
	s_delay_alu instid0(VALU_DEP_1) | instskip(NEXT) | instid1(VALU_DEP_1)
	v_add_f64_e32 v[104:105], v[22:23], v[104:105]
	v_add_f64_e32 v[104:105], v[190:191], v[104:105]
	v_mul_f64_e32 v[190:191], s[26:27], v[70:71]
	v_mul_f64_e32 v[70:71], s[34:35], v[70:71]
	s_delay_alu instid0(VALU_DEP_2) | instskip(SKIP_1) | instid1(VALU_DEP_2)
	v_fma_f64 v[192:193], v[64:65], s[28:29], v[190:191]
	v_fma_f64 v[114:115], v[64:65], s[38:39], v[190:191]
	v_add_f64_e32 v[102:103], v[192:193], v[102:103]
	v_mul_f64_e32 v[192:193], s[28:29], v[118:119]
	s_delay_alu instid0(VALU_DEP_3) | instskip(SKIP_1) | instid1(VALU_DEP_3)
	v_add_f64_e32 v[110:111], v[114:115], v[110:111]
	v_mul_f64_e32 v[118:119], s[40:41], v[118:119]
	v_fma_f64 v[194:195], v[120:121], s[26:27], -v[192:193]
	v_fma_f64 v[114:115], v[120:121], s[26:27], v[192:193]
	s_delay_alu instid0(VALU_DEP_2) | instskip(SKIP_1) | instid1(VALU_DEP_3)
	v_add_f64_e32 v[104:105], v[194:195], v[104:105]
	v_mul_f64_e32 v[194:195], s[8:9], v[122:123]
	v_add_f64_e32 v[112:113], v[114:115], v[112:113]
	v_mul_f64_e32 v[122:123], s[26:27], v[122:123]
	s_delay_alu instid0(VALU_DEP_3) | instskip(SKIP_1) | instid1(VALU_DEP_2)
	v_fma_f64 v[196:197], v[124:125], s[14:15], v[194:195]
	v_fma_f64 v[114:115], v[124:125], s[10:11], v[194:195]
	v_add_f64_e32 v[102:103], v[196:197], v[102:103]
	v_mul_f64_e32 v[196:197], s[14:15], v[126:127]
	s_delay_alu instid0(VALU_DEP_3) | instskip(SKIP_1) | instid1(VALU_DEP_3)
	v_add_f64_e32 v[110:111], v[114:115], v[110:111]
	v_mul_f64_e32 v[126:127], s[38:39], v[126:127]
	v_fma_f64 v[198:199], v[128:129], s[8:9], -v[196:197]
	v_fma_f64 v[114:115], v[128:129], s[8:9], v[196:197]
	s_delay_alu instid0(VALU_DEP_2) | instskip(SKIP_1) | instid1(VALU_DEP_3)
	v_add_f64_e32 v[104:105], v[198:199], v[104:105]
	v_mul_f64_e32 v[198:199], s[20:21], v[130:131]
	v_add_f64_e32 v[112:113], v[114:115], v[112:113]
	v_mul_f64_e32 v[130:131], s[12:13], v[130:131]
	s_delay_alu instid0(VALU_DEP_3) | instskip(SKIP_1) | instid1(VALU_DEP_2)
	v_fma_f64 v[200:201], v[132:133], s[24:25], v[198:199]
	v_fma_f64 v[114:115], v[132:133], s[30:31], v[198:199]
	v_add_f64_e32 v[102:103], v[200:201], v[102:103]
	v_mul_f64_e32 v[200:201], s[24:25], v[134:135]
	s_delay_alu instid0(VALU_DEP_3) | instskip(SKIP_1) | instid1(VALU_DEP_3)
	v_add_f64_e32 v[110:111], v[114:115], v[110:111]
	v_mul_f64_e32 v[134:135], s[22:23], v[134:135]
	v_fma_f64 v[114:115], v[136:137], s[20:21], v[200:201]
	v_fma_f64 v[202:203], v[136:137], s[20:21], -v[200:201]
	s_delay_alu instid0(VALU_DEP_2) | instskip(SKIP_1) | instid1(VALU_DEP_3)
	v_add_f64_e32 v[114:115], v[114:115], v[112:113]
	v_fma_f64 v[112:113], v[140:141], s[16:17], v[204:205]
	v_add_f64_e32 v[202:203], v[202:203], v[104:105]
	v_fma_f64 v[104:105], v[140:141], s[22:23], v[204:205]
	s_delay_alu instid0(VALU_DEP_3)
	v_add_f64_e32 v[112:113], v[112:113], v[110:111]
	v_add_f64_e32 v[110:111], v[116:117], v[114:115]
	v_fma_f64 v[114:115], v[54:55], s[30:31], v[158:159]
	v_fma_f64 v[116:117], v[56:57], s[28:29], v[160:161]
	v_add_f64_e32 v[104:105], v[104:105], v[102:103]
	v_fma_f64 v[102:103], v[144:145], s[12:13], -v[206:207]
	s_delay_alu instid0(VALU_DEP_4) | instskip(NEXT) | instid1(VALU_DEP_2)
	v_add_f64_e32 v[114:115], v[50:51], v[114:115]
	v_add_f64_e32 v[102:103], v[102:103], v[202:203]
	s_delay_alu instid0(VALU_DEP_2) | instskip(SKIP_1) | instid1(VALU_DEP_1)
	v_add_f64_e32 v[114:115], v[116:117], v[114:115]
	v_fma_f64 v[116:117], v[58:59], s[20:21], v[162:163]
	v_add_f64_e32 v[116:117], v[22:23], v[116:117]
	s_delay_alu instid0(VALU_DEP_1) | instskip(SKIP_1) | instid1(VALU_DEP_1)
	v_add_f64_e32 v[116:117], v[146:147], v[116:117]
	v_fma_f64 v[146:147], v[64:65], s[4:5], v[166:167]
	v_add_f64_e32 v[114:115], v[146:147], v[114:115]
	v_fma_f64 v[146:147], v[120:121], s[0:1], v[168:169]
	s_delay_alu instid0(VALU_DEP_1) | instskip(SKIP_1) | instid1(VALU_DEP_1)
	v_add_f64_e32 v[116:117], v[146:147], v[116:117]
	v_fma_f64 v[146:147], v[124:125], s[22:23], v[170:171]
	v_add_f64_e32 v[114:115], v[146:147], v[114:115]
	v_fma_f64 v[146:147], v[128:129], s[12:13], v[172:173]
	;; [unrolled: 5-line block ×3, first 2 shown]
	s_delay_alu instid0(VALU_DEP_1) | instskip(SKIP_1) | instid1(VALU_DEP_1)
	v_add_f64_e32 v[146:147], v[146:147], v[116:117]
	v_fma_f64 v[116:117], v[140:141], s[10:11], v[178:179]
	v_add_f64_e32 v[116:117], v[116:117], v[114:115]
	s_delay_alu instid0(VALU_DEP_3)
	v_add_f64_e32 v[114:115], v[148:149], v[146:147]
	v_fma_f64 v[146:147], v[54:55], s[10:11], v[52:53]
	v_fma_f64 v[148:149], v[56:57], s[24:25], v[62:63]
	;; [unrolled: 1-line block ×6, first 2 shown]
	v_add_f64_e32 v[146:147], v[50:51], v[146:147]
	v_add_f64_e32 v[52:53], v[50:51], v[52:53]
	s_delay_alu instid0(VALU_DEP_2) | instskip(SKIP_1) | instid1(VALU_DEP_3)
	v_add_f64_e32 v[146:147], v[148:149], v[146:147]
	v_mul_f64_e32 v[148:149], s[10:11], v[66:67]
	v_add_f64_e32 v[52:53], v[56:57], v[52:53]
	s_delay_alu instid0(VALU_DEP_2) | instskip(SKIP_1) | instid1(VALU_DEP_3)
	v_fma_f64 v[66:67], v[58:59], s[8:9], -v[148:149]
	v_fma_f64 v[58:59], v[58:59], s[8:9], v[148:149]
	v_add_f64_e32 v[52:53], v[54:55], v[52:53]
	s_delay_alu instid0(VALU_DEP_3) | instskip(NEXT) | instid1(VALU_DEP_3)
	v_add_f64_e32 v[66:67], v[22:23], v[66:67]
	v_add_f64_e32 v[56:57], v[22:23], v[58:59]
	;; [unrolled: 1-line block ×3, first 2 shown]
	v_fma_f64 v[58:59], v[124:125], s[28:29], v[122:123]
	s_delay_alu instid0(VALU_DEP_4) | instskip(SKIP_1) | instid1(VALU_DEP_4)
	v_add_f64_e32 v[66:67], v[68:69], v[66:67]
	v_fma_f64 v[68:69], v[64:65], s[40:41], v[70:71]
	v_add_f64_e32 v[6:7], v[46:47], v[22:23]
	v_add_f64_e32 v[56:57], v[60:61], v[56:57]
	v_fma_f64 v[60:61], v[128:129], s[26:27], v[126:127]
	v_add_f64_e32 v[52:53], v[58:59], v[52:53]
	v_fma_f64 v[58:59], v[140:141], s[4:5], v[138:139]
	v_add_f64_e32 v[68:69], v[68:69], v[146:147]
	v_add_f64_e32 v[6:7], v[24:25], v[6:7]
	v_fma_f64 v[146:147], v[120:121], s[34:35], -v[118:119]
	v_add_f64_e32 v[54:55], v[62:63], v[56:57]
	v_fma_f64 v[56:57], v[132:133], s[16:17], v[130:131]
	v_fma_f64 v[62:63], v[136:137], s[12:13], v[134:135]
	v_add_f64_e32 v[6:7], v[8:9], v[6:7]
	v_add_f64_e32 v[66:67], v[146:147], v[66:67]
	v_fma_f64 v[146:147], v[124:125], s[38:39], v[122:123]
	v_add_f64_e32 v[54:55], v[60:61], v[54:55]
	v_fma_f64 v[60:61], v[144:145], s[0:1], v[142:143]
	v_add_f64_e32 v[52:53], v[56:57], v[52:53]
	v_add_f64_e32 v[6:7], v[38:39], v[6:7]
	;; [unrolled: 1-line block ×3, first 2 shown]
	v_fma_f64 v[146:147], v[128:129], s[26:27], -v[126:127]
	v_add_f64_e32 v[56:57], v[62:63], v[54:55]
	v_add_f64_e32 v[54:55], v[58:59], v[52:53]
	;; [unrolled: 1-line block ×3, first 2 shown]
	v_mul_lo_u32 v6, s3, v78
	v_mul_lo_u32 v7, s2, v79
	v_add_f64_e32 v[66:67], v[146:147], v[66:67]
	v_fma_f64 v[146:147], v[132:133], s[22:23], v[130:131]
	v_add_f64_e32 v[52:53], v[60:61], v[56:57]
	v_add_f64_e32 v[2:3], v[18:19], v[4:5]
	v_mad_co_u64_u32 v[4:5], null, s2, v78, 0
	s_delay_alu instid0(VALU_DEP_4) | instskip(SKIP_1) | instid1(VALU_DEP_3)
	v_add_f64_e32 v[68:69], v[146:147], v[68:69]
	v_fma_f64 v[146:147], v[136:137], s[12:13], -v[134:135]
	v_add3_u32 v5, v5, v7, v6
	s_delay_alu instid0(VALU_DEP_1) | instskip(NEXT) | instid1(VALU_DEP_1)
	v_lshlrev_b64_e32 v[4:5], 4, v[4:5]
	v_add_co_u32 v6, vcc_lo, s6, v4
	s_wait_alu 0xfffd
	s_delay_alu instid0(VALU_DEP_2) | instskip(SKIP_1) | instid1(VALU_DEP_1)
	v_add_co_ci_u32_e32 v7, vcc_lo, s7, v5, vcc_lo
	v_lshlrev_b64_e32 v[4:5], 4, v[76:77]
	v_add_co_u32 v6, vcc_lo, v6, v4
	s_wait_alu 0xfffd
	s_delay_alu instid0(VALU_DEP_2) | instskip(SKIP_2) | instid1(VALU_DEP_2)
	v_add_co_ci_u32_e32 v7, vcc_lo, v7, v5, vcc_lo
	v_lshlrev_b64_e32 v[4:5], 4, v[80:81]
	v_add_f64_e32 v[2:3], v[28:29], v[2:3]
	v_add_co_u32 v4, vcc_lo, v6, v4
	s_wait_alu 0xfffd
	s_delay_alu instid0(VALU_DEP_3) | instskip(SKIP_3) | instid1(VALU_DEP_2)
	v_add_co_ci_u32_e32 v5, vcc_lo, v7, v5, vcc_lo
	v_add_f64_e32 v[66:67], v[146:147], v[66:67]
	v_fma_f64 v[146:147], v[140:141], s[18:19], v[138:139]
	v_add_f64_e32 v[2:3], v[30:31], v[2:3]
	v_add_f64_e32 v[68:69], v[146:147], v[68:69]
	v_fma_f64 v[146:147], v[144:145], s[0:1], -v[142:143]
	s_delay_alu instid0(VALU_DEP_3) | instskip(NEXT) | instid1(VALU_DEP_2)
	v_add_f64_e32 v[2:3], v[32:33], v[2:3]
	v_add_f64_e32 v[66:67], v[146:147], v[66:67]
	s_delay_alu instid0(VALU_DEP_2)
	v_add_f64_e32 v[2:3], v[42:43], v[2:3]
	s_clause 0xc
	global_store_b128 v[4:5], v[98:101], off offset:1248
	global_store_b128 v[4:5], v[102:105], off offset:1872
	;; [unrolled: 1-line block ×11, first 2 shown]
	global_store_b128 v[4:5], v[0:3], off
	global_store_b128 v[4:5], v[52:55], off offset:7488
.LBB0_22:
	s_nop 0
	s_sendmsg sendmsg(MSG_DEALLOC_VGPRS)
	s_endpgm
	.section	.rodata,"a",@progbits
	.p2align	6, 0x0
	.amdhsa_kernel fft_rtc_fwd_len507_factors_13_3_13_wgs_117_tpt_39_halfLds_dp_op_CI_CI_unitstride_sbrr_dirReg
		.amdhsa_group_segment_fixed_size 0
		.amdhsa_private_segment_fixed_size 0
		.amdhsa_kernarg_size 104
		.amdhsa_user_sgpr_count 2
		.amdhsa_user_sgpr_dispatch_ptr 0
		.amdhsa_user_sgpr_queue_ptr 0
		.amdhsa_user_sgpr_kernarg_segment_ptr 1
		.amdhsa_user_sgpr_dispatch_id 0
		.amdhsa_user_sgpr_private_segment_size 0
		.amdhsa_wavefront_size32 1
		.amdhsa_uses_dynamic_stack 0
		.amdhsa_enable_private_segment 0
		.amdhsa_system_sgpr_workgroup_id_x 1
		.amdhsa_system_sgpr_workgroup_id_y 0
		.amdhsa_system_sgpr_workgroup_id_z 0
		.amdhsa_system_sgpr_workgroup_info 0
		.amdhsa_system_vgpr_workitem_id 0
		.amdhsa_next_free_vgpr 208
		.amdhsa_next_free_sgpr 46
		.amdhsa_reserve_vcc 1
		.amdhsa_float_round_mode_32 0
		.amdhsa_float_round_mode_16_64 0
		.amdhsa_float_denorm_mode_32 3
		.amdhsa_float_denorm_mode_16_64 3
		.amdhsa_fp16_overflow 0
		.amdhsa_workgroup_processor_mode 1
		.amdhsa_memory_ordered 1
		.amdhsa_forward_progress 0
		.amdhsa_round_robin_scheduling 0
		.amdhsa_exception_fp_ieee_invalid_op 0
		.amdhsa_exception_fp_denorm_src 0
		.amdhsa_exception_fp_ieee_div_zero 0
		.amdhsa_exception_fp_ieee_overflow 0
		.amdhsa_exception_fp_ieee_underflow 0
		.amdhsa_exception_fp_ieee_inexact 0
		.amdhsa_exception_int_div_zero 0
	.end_amdhsa_kernel
	.text
.Lfunc_end0:
	.size	fft_rtc_fwd_len507_factors_13_3_13_wgs_117_tpt_39_halfLds_dp_op_CI_CI_unitstride_sbrr_dirReg, .Lfunc_end0-fft_rtc_fwd_len507_factors_13_3_13_wgs_117_tpt_39_halfLds_dp_op_CI_CI_unitstride_sbrr_dirReg
                                        ; -- End function
	.section	.AMDGPU.csdata,"",@progbits
; Kernel info:
; codeLenInByte = 10384
; NumSgprs: 48
; NumVgprs: 208
; ScratchSize: 0
; MemoryBound: 1
; FloatMode: 240
; IeeeMode: 1
; LDSByteSize: 0 bytes/workgroup (compile time only)
; SGPRBlocks: 5
; VGPRBlocks: 25
; NumSGPRsForWavesPerEU: 48
; NumVGPRsForWavesPerEU: 208
; Occupancy: 7
; WaveLimiterHint : 1
; COMPUTE_PGM_RSRC2:SCRATCH_EN: 0
; COMPUTE_PGM_RSRC2:USER_SGPR: 2
; COMPUTE_PGM_RSRC2:TRAP_HANDLER: 0
; COMPUTE_PGM_RSRC2:TGID_X_EN: 1
; COMPUTE_PGM_RSRC2:TGID_Y_EN: 0
; COMPUTE_PGM_RSRC2:TGID_Z_EN: 0
; COMPUTE_PGM_RSRC2:TIDIG_COMP_CNT: 0
	.text
	.p2alignl 7, 3214868480
	.fill 96, 4, 3214868480
	.type	__hip_cuid_c5c1203f29045127,@object ; @__hip_cuid_c5c1203f29045127
	.section	.bss,"aw",@nobits
	.globl	__hip_cuid_c5c1203f29045127
__hip_cuid_c5c1203f29045127:
	.byte	0                               ; 0x0
	.size	__hip_cuid_c5c1203f29045127, 1

	.ident	"AMD clang version 19.0.0git (https://github.com/RadeonOpenCompute/llvm-project roc-6.4.0 25133 c7fe45cf4b819c5991fe208aaa96edf142730f1d)"
	.section	".note.GNU-stack","",@progbits
	.addrsig
	.addrsig_sym __hip_cuid_c5c1203f29045127
	.amdgpu_metadata
---
amdhsa.kernels:
  - .args:
      - .actual_access:  read_only
        .address_space:  global
        .offset:         0
        .size:           8
        .value_kind:     global_buffer
      - .offset:         8
        .size:           8
        .value_kind:     by_value
      - .actual_access:  read_only
        .address_space:  global
        .offset:         16
        .size:           8
        .value_kind:     global_buffer
      - .actual_access:  read_only
        .address_space:  global
        .offset:         24
        .size:           8
        .value_kind:     global_buffer
      - .actual_access:  read_only
        .address_space:  global
        .offset:         32
        .size:           8
        .value_kind:     global_buffer
      - .offset:         40
        .size:           8
        .value_kind:     by_value
      - .actual_access:  read_only
        .address_space:  global
        .offset:         48
        .size:           8
        .value_kind:     global_buffer
      - .actual_access:  read_only
        .address_space:  global
        .offset:         56
        .size:           8
        .value_kind:     global_buffer
      - .offset:         64
        .size:           4
        .value_kind:     by_value
      - .actual_access:  read_only
        .address_space:  global
        .offset:         72
        .size:           8
        .value_kind:     global_buffer
      - .actual_access:  read_only
        .address_space:  global
        .offset:         80
        .size:           8
        .value_kind:     global_buffer
      - .actual_access:  read_only
        .address_space:  global
        .offset:         88
        .size:           8
        .value_kind:     global_buffer
      - .actual_access:  write_only
        .address_space:  global
        .offset:         96
        .size:           8
        .value_kind:     global_buffer
    .group_segment_fixed_size: 0
    .kernarg_segment_align: 8
    .kernarg_segment_size: 104
    .language:       OpenCL C
    .language_version:
      - 2
      - 0
    .max_flat_workgroup_size: 117
    .name:           fft_rtc_fwd_len507_factors_13_3_13_wgs_117_tpt_39_halfLds_dp_op_CI_CI_unitstride_sbrr_dirReg
    .private_segment_fixed_size: 0
    .sgpr_count:     48
    .sgpr_spill_count: 0
    .symbol:         fft_rtc_fwd_len507_factors_13_3_13_wgs_117_tpt_39_halfLds_dp_op_CI_CI_unitstride_sbrr_dirReg.kd
    .uniform_work_group_size: 1
    .uses_dynamic_stack: false
    .vgpr_count:     208
    .vgpr_spill_count: 0
    .wavefront_size: 32
    .workgroup_processor_mode: 1
amdhsa.target:   amdgcn-amd-amdhsa--gfx1201
amdhsa.version:
  - 1
  - 2
...

	.end_amdgpu_metadata
